;; amdgpu-corpus repo=ROCm/rocFFT kind=compiled arch=gfx1201 opt=O3
	.text
	.amdgcn_target "amdgcn-amd-amdhsa--gfx1201"
	.amdhsa_code_object_version 6
	.protected	bluestein_single_back_len578_dim1_sp_op_CI_CI ; -- Begin function bluestein_single_back_len578_dim1_sp_op_CI_CI
	.globl	bluestein_single_back_len578_dim1_sp_op_CI_CI
	.p2align	8
	.type	bluestein_single_back_len578_dim1_sp_op_CI_CI,@function
bluestein_single_back_len578_dim1_sp_op_CI_CI: ; @bluestein_single_back_len578_dim1_sp_op_CI_CI
; %bb.0:
	s_load_b128 s[12:15], s[0:1], 0x28
	v_mul_u32_u24_e32 v1, 0x788, v0
	s_mov_b32 s2, exec_lo
	s_delay_alu instid0(VALU_DEP_1) | instskip(NEXT) | instid1(VALU_DEP_1)
	v_lshrrev_b32_e32 v1, 16, v1
	v_mad_co_u64_u32 v[64:65], null, ttmp9, 7, v[1:2]
	v_mov_b32_e32 v65, 0
                                        ; kill: def $vgpr2 killed $sgpr0 killed $exec
	s_wait_kmcnt 0x0
	s_delay_alu instid0(VALU_DEP_1)
	v_cmpx_gt_u64_e64 s[12:13], v[64:65]
	s_cbranch_execz .LBB0_10
; %bb.1:
	s_clause 0x1
	s_load_b128 s[4:7], s[0:1], 0x18
	s_load_b128 s[8:11], s[0:1], 0x0
	v_mul_lo_u16 v1, v1, 34
	v_mul_hi_u32 v34, 0x24924925, v64
	s_delay_alu instid0(VALU_DEP_2) | instskip(NEXT) | instid1(VALU_DEP_2)
	v_sub_nc_u16 v35, v0, v1
	v_sub_nc_u32_e32 v36, v64, v34
	s_delay_alu instid0(VALU_DEP_2) | instskip(NEXT) | instid1(VALU_DEP_2)
	v_and_b32_e32 v123, 0xffff, v35
	v_lshrrev_b32_e32 v36, 1, v36
	s_delay_alu instid0(VALU_DEP_2)
	v_lshlrev_b32_e32 v101, 3, v123
	s_wait_kmcnt 0x0
	s_load_b128 s[16:19], s[4:5], 0x0
	s_clause 0xe
	global_load_b64 v[95:96], v101, s[8:9]
	global_load_b64 v[97:98], v101, s[8:9] offset:272
	global_load_b64 v[65:66], v101, s[8:9] offset:544
	;; [unrolled: 1-line block ×14, first 2 shown]
	v_add_nc_u32_e32 v34, v36, v34
	s_delay_alu instid0(VALU_DEP_1) | instskip(NEXT) | instid1(VALU_DEP_1)
	v_lshrrev_b32_e32 v34, 2, v34
	v_mul_lo_u32 v34, v34, 7
	s_wait_kmcnt 0x0
	v_mad_co_u64_u32 v[0:1], null, s18, v64, 0
	v_mad_co_u64_u32 v[2:3], null, s16, v123, 0
	s_mul_u64 s[2:3], s[16:17], 0x110
	s_delay_alu instid0(VALU_DEP_3) | instskip(NEXT) | instid1(VALU_DEP_2)
	v_sub_nc_u32_e32 v34, v64, v34
	v_mad_co_u64_u32 v[4:5], null, s19, v64, v[1:2]
	s_delay_alu instid0(VALU_DEP_2) | instskip(NEXT) | instid1(VALU_DEP_1)
	v_mul_u32_u24_e32 v34, 0x242, v34
	v_lshlrev_b32_e32 v125, 3, v34
	s_delay_alu instid0(VALU_DEP_3) | instskip(NEXT) | instid1(VALU_DEP_2)
	v_mad_co_u64_u32 v[5:6], null, s17, v123, v[3:4]
	v_dual_mov_b32 v1, v4 :: v_dual_add_nc_u32 v124, v101, v125
	s_delay_alu instid0(VALU_DEP_1) | instskip(NEXT) | instid1(VALU_DEP_3)
	v_lshlrev_b64_e32 v[0:1], 3, v[0:1]
	v_mov_b32_e32 v3, v5
	s_delay_alu instid0(VALU_DEP_1) | instskip(NEXT) | instid1(VALU_DEP_3)
	v_lshlrev_b64_e32 v[2:3], 3, v[2:3]
	v_add_co_u32 v0, vcc_lo, s14, v0
	s_delay_alu instid0(VALU_DEP_4) | instskip(NEXT) | instid1(VALU_DEP_2)
	v_add_co_ci_u32_e32 v1, vcc_lo, s15, v1, vcc_lo
	v_add_co_u32 v0, vcc_lo, v0, v2
	s_wait_alu 0xfffd
	s_delay_alu instid0(VALU_DEP_2) | instskip(NEXT) | instid1(VALU_DEP_2)
	v_add_co_ci_u32_e32 v1, vcc_lo, v1, v3, vcc_lo
	v_add_co_u32 v2, vcc_lo, v0, s2
	s_wait_alu 0xfffd
	s_delay_alu instid0(VALU_DEP_2) | instskip(NEXT) | instid1(VALU_DEP_2)
	;; [unrolled: 4-line block ×4, first 2 shown]
	v_add_co_ci_u32_e32 v7, vcc_lo, s3, v5, vcc_lo
	v_add_co_u32 v8, vcc_lo, v6, s2
	s_wait_alu 0xfffd
	s_delay_alu instid0(VALU_DEP_2)
	v_add_co_ci_u32_e32 v9, vcc_lo, s3, v7, vcc_lo
	s_clause 0x3
	global_load_b64 v[0:1], v[0:1], off
	global_load_b64 v[2:3], v[2:3], off
	;; [unrolled: 1-line block ×4, first 2 shown]
	v_add_nc_u32_e32 v40, 0x800, v124
	v_add_co_u32 v10, vcc_lo, v8, s2
	s_wait_alu 0xfffd
	v_add_co_ci_u32_e32 v11, vcc_lo, s3, v9, vcc_lo
	global_load_b64 v[8:9], v[8:9], off
	v_add_co_u32 v12, vcc_lo, v10, s2
	s_wait_alu 0xfffd
	v_add_co_ci_u32_e32 v13, vcc_lo, s3, v11, vcc_lo
	global_load_b64 v[10:11], v[10:11], off
	;; [unrolled: 4-line block ×11, first 2 shown]
	v_add_co_u32 v32, vcc_lo, v30, s2
	s_wait_alu 0xfffd
	v_add_co_ci_u32_e32 v33, vcc_lo, s3, v31, vcc_lo
	v_cmp_gt_u16_e32 vcc_lo, 17, v35
	s_wait_loadcnt 0xe
	v_mul_f32_e32 v34, v0, v96
	global_load_b64 v[91:92], v101, s[8:9] offset:4080
	global_load_b64 v[30:31], v[30:31], off
	global_load_b64 v[93:94], v101, s[8:9] offset:4352
	global_load_b64 v[32:33], v[32:33], off
	v_mul_f32_e32 v36, v1, v96
	s_load_b128 s[4:7], s[6:7], 0x0
	s_wait_loadcnt 0xf
	v_dual_mul_f32 v38, v3, v98 :: v_dual_mul_f32 v41, v6, v68
	v_fma_f32 v37, v1, v95, -v34
	v_dual_fmac_f32 v36, v0, v95 :: v_dual_mul_f32 v1, v2, v98
	v_mul_f32_e32 v0, v5, v66
	v_mul_f32_e32 v34, v4, v66
	v_fmac_f32_e32 v38, v2, v97
	v_mul_f32_e32 v2, v7, v68
	v_fma_f32 v39, v3, v97, -v1
	v_fmac_f32_e32 v0, v4, v65
	v_fma_f32 v1, v5, v65, -v34
	v_fma_f32 v3, v7, v67, -v41
	s_wait_loadcnt 0xe
	v_mul_f32_e32 v4, v9, v76
	v_dual_mul_f32 v5, v8, v76 :: v_dual_fmac_f32 v2, v6, v67
	s_wait_loadcnt 0xd
	v_mul_f32_e32 v6, v11, v80
	ds_store_2addr_b64 v124, v[36:37], v[38:39] offset1:34
	v_fmac_f32_e32 v4, v8, v75
	v_fma_f32 v5, v9, v75, -v5
	s_wait_loadcnt 0xb
	v_mul_f32_e32 v8, v14, v84
	s_wait_loadcnt 0xa
	v_dual_fmac_f32 v6, v10, v79 :: v_dual_mul_f32 v9, v16, v86
	ds_store_2addr_b64 v124, v[0:1], v[2:3] offset0:68 offset1:102
	v_dual_mul_f32 v1, v10, v80 :: v_dual_mul_f32 v0, v13, v78
	v_dual_mul_f32 v3, v12, v78 :: v_dual_mul_f32 v2, v15, v84
	v_fma_f32 v9, v17, v85, -v9
	s_delay_alu instid0(VALU_DEP_3) | instskip(NEXT) | instid1(VALU_DEP_3)
	v_fma_f32 v7, v11, v79, -v1
	v_fma_f32 v1, v13, v77, -v3
	;; [unrolled: 1-line block ×3, first 2 shown]
	v_mul_f32_e32 v8, v17, v86
	s_wait_loadcnt 0x5
	s_delay_alu instid0(VALU_DEP_1) | instskip(SKIP_4) | instid1(VALU_DEP_3)
	v_dual_fmac_f32 v8, v16, v85 :: v_dual_mul_f32 v11, v26, v74
	s_wait_loadcnt 0x4
	v_dual_mul_f32 v10, v27, v74 :: v_dual_mul_f32 v13, v28, v72
	v_fmac_f32_e32 v0, v12, v77
	v_mul_f32_e32 v12, v29, v72
	v_fmac_f32_e32 v10, v26, v73
	v_fma_f32 v11, v27, v73, -v11
	v_fma_f32 v13, v29, v71, -v13
	s_wait_loadcnt 0x2
	v_dual_fmac_f32 v12, v28, v71 :: v_dual_mul_f32 v15, v30, v92
	s_wait_loadcnt 0x0
	v_dual_mul_f32 v17, v32, v94 :: v_dual_fmac_f32 v2, v14, v83
	v_mul_f32_e32 v14, v31, v92
	v_mul_f32_e32 v16, v33, v94
	v_fma_f32 v15, v31, v91, -v15
	s_delay_alu instid0(VALU_DEP_4)
	v_fma_f32 v17, v33, v93, -v17
	ds_store_2addr_b64 v124, v[0:1], v[2:3] offset0:204 offset1:238
	v_mul_f32_e32 v1, v18, v82
	v_mul_f32_e32 v3, v20, v88
	ds_store_2addr_b64 v124, v[4:5], v[6:7] offset0:136 offset1:170
	v_mul_f32_e32 v7, v22, v90
	v_mul_f32_e32 v4, v19, v82
	v_mul_f32_e32 v0, v21, v88
	v_mul_f32_e32 v2, v23, v90
	v_mul_f32_e32 v6, v25, v70
	v_fmac_f32_e32 v14, v30, v91
	v_fmac_f32_e32 v16, v32, v93
	v_fma_f32 v5, v19, v81, -v1
	v_fma_f32 v1, v21, v87, -v3
	;; [unrolled: 1-line block ×3, first 2 shown]
	v_dual_mul_f32 v7, v24, v70 :: v_dual_fmac_f32 v4, v18, v81
	v_fmac_f32_e32 v0, v20, v87
	v_fmac_f32_e32 v2, v22, v89
	;; [unrolled: 1-line block ×3, first 2 shown]
	s_delay_alu instid0(VALU_DEP_4)
	v_fma_f32 v7, v25, v69, -v7
	ds_store_2addr_b64 v40, v[8:9], v[4:5] offset0:16 offset1:50
	ds_store_2addr_b64 v40, v[0:1], v[2:3] offset0:84 offset1:118
	;; [unrolled: 1-line block ×4, first 2 shown]
	ds_store_b64 v124, v[16:17] offset:4352
	global_wb scope:SCOPE_SE
	s_wait_dscnt 0x0
	s_wait_kmcnt 0x0
	s_barrier_signal -1
	s_barrier_wait -1
	global_inv scope:SCOPE_SE
	ds_load_2addr_b64 v[24:27], v124 offset1:34
	ds_load_b64 v[32:33], v124 offset:4352
	ds_load_2addr_b64 v[28:31], v124 offset0:68 offset1:102
	ds_load_2addr_b64 v[20:23], v40 offset0:220 offset1:254
	;; [unrolled: 1-line block ×7, first 2 shown]
	global_wb scope:SCOPE_SE
	s_wait_dscnt 0x0
	s_barrier_signal -1
	s_barrier_wait -1
	global_inv scope:SCOPE_SE
	v_add_f32_e32 v39, v25, v27
	v_dual_sub_f32 v41, v26, v32 :: v_dual_add_f32 v38, v24, v26
	v_add_f32_e32 v37, v33, v27
	v_dual_sub_f32 v45, v28, v22 :: v_dual_sub_f32 v46, v29, v23
	v_dual_add_f32 v43, v22, v28 :: v_dual_add_f32 v36, v32, v26
	v_sub_f32_e32 v49, v30, v20
	s_delay_alu instid0(VALU_DEP_3)
	v_mul_f32_e32 v103, 0xbf7ee86f, v45
	v_dual_sub_f32 v51, v13, v19 :: v_dual_sub_f32 v42, v27, v33
	v_add_f32_e32 v44, v23, v29
	v_dual_add_f32 v29, v39, v29 :: v_dual_sub_f32 v34, v12, v18
	v_mul_f32_e32 v111, 0x3f763a35, v45
	v_mul_f32_e32 v39, 0xbeb8f4ab, v41
	;; [unrolled: 1-line block ×8, first 2 shown]
	v_dual_mul_f32 v41, 0xbe3c28d5, v41 :: v_dual_add_f32 v28, v38, v28
	v_mul_f32_e32 v113, 0x3f65296c, v45
	v_mul_f32_e32 v133, 0xbe3c28d5, v51
	v_dual_mul_f32 v38, 0xbeb8f4ab, v42 :: v_dual_add_f32 v29, v29, v31
	v_dual_add_f32 v27, v19, v13 :: v_dual_mul_f32 v54, 0xbf65296c, v42
	v_mul_f32_e32 v115, 0xbf65296c, v49
	s_delay_alu instid0(VALU_DEP_3)
	v_dual_mul_f32 v134, 0xbe3c28d5, v34 :: v_dual_add_f32 v13, v29, v13
	v_dual_add_f32 v48, v21, v31 :: v_dual_mul_f32 v107, 0xbe3c28d5, v45
	v_dual_sub_f32 v50, v31, v21 :: v_dual_mul_f32 v137, 0x3eb8f4ab, v51
	v_mul_f32_e32 v105, 0xbf4c4adb, v45
	v_dual_mul_f32 v110, 0x3f763a35, v46 :: v_dual_mul_f32 v121, 0x3f763a35, v49
	v_dual_mul_f32 v135, 0x3f763a35, v51 :: v_dual_add_f32 v28, v28, v30
	v_fmamk_f32 v31, v37, 0x3f6eb680, v39
	v_mul_f32_e32 v52, 0xbf2c7751, v42
	v_fma_f32 v147, 0x3ee437d1, v36, -v54
	v_dual_fmamk_f32 v160, v44, 0x3dbcf732, v103 :: v_dual_add_f32 v13, v13, v15
	v_fmamk_f32 v170, v44, 0x3ee437d1, v113
	v_fma_f32 v113, 0x3ee437d1, v44, -v113
	v_fmamk_f32 v168, v44, 0xbe8c1d8e, v111
	v_fma_f32 v111, 0xbe8c1d8e, v44, -v111
	;; [unrolled: 2-line block ×3, first 2 shown]
	v_dual_mul_f32 v60, 0xbf4c4adb, v42 :: v_dual_mul_f32 v117, 0xbf4c4adb, v49
	v_mul_f32_e32 v62, 0xbf06c442, v42
	v_dual_mul_f32 v100, 0xbf2c7751, v45 :: v_dual_add_f32 v147, v24, v147
	s_delay_alu instid0(VALU_DEP_4)
	v_dual_mul_f32 v120, 0x3f763a35, v50 :: v_dual_add_f32 v61, v25, v61
	v_fma_f32 v39, 0x3f6eb680, v37, -v39
	v_mul_f32_e32 v56, 0xbf7ee86f, v42
	v_fmamk_f32 v146, v37, 0x3f3d2fb0, v53
	v_fma_f32 v53, 0x3f3d2fb0, v37, -v53
	v_fma_f32 v167, 0xbe8c1d8e, v43, -v110
	v_dual_fmac_f32 v110, 0xbe8c1d8e, v43 :: v_dual_add_f32 v13, v13, v5
	v_add_f32_e32 v31, v25, v31
	v_fma_f32 v145, 0x3f3d2fb0, v36, -v52
	v_mul_f32_e32 v58, 0xbf763a35, v42
	v_dual_mul_f32 v42, 0xbe3c28d5, v42 :: v_dual_add_f32 v53, v25, v53
	v_dual_add_f32 v47, v20, v30 :: v_dual_add_f32 v26, v18, v12
	v_mul_f32_e32 v109, 0x3f06c442, v45
	v_mul_f32_e32 v99, 0xbf2c7751, v46
	v_dual_mul_f32 v118, 0x3e3c28d5, v50 :: v_dual_mul_f32 v119, 0x3e3c28d5, v49
	v_mul_f32_e32 v126, 0x3f2c7751, v49
	v_mul_f32_e32 v127, 0xbeb8f4ab, v50
	v_dual_mul_f32 v129, 0xbf7ee86f, v50 :: v_dual_mul_f32 v130, 0xbf7ee86f, v49
	v_dual_mul_f32 v143, 0x3f4c4adb, v51 :: v_dual_mul_f32 v144, 0x3f4c4adb, v34
	v_fma_f32 v30, 0x3f6eb680, v36, -v38
	v_fmac_f32_e32 v38, 0x3f6eb680, v36
	v_fmac_f32_e32 v52, 0x3f3d2fb0, v36
	;; [unrolled: 1-line block ×3, first 2 shown]
	v_fma_f32 v153, 0xbf1a4643, v36, -v60
	v_fmac_f32_e32 v60, 0xbf1a4643, v36
	v_fma_f32 v157, 0xbf7ba420, v36, -v42
	v_fmamk_f32 v158, v37, 0xbf7ba420, v41
	v_fmac_f32_e32 v42, 0xbf7ba420, v36
	v_dual_fmamk_f32 v188, v27, 0xbf7ba420, v134 :: v_dual_add_f32 v13, v13, v7
	v_add_f32_e32 v39, v25, v39
	v_fma_f32 v149, 0x3dbcf732, v36, -v56
	v_mul_f32_e32 v104, 0xbf4c4adb, v46
	v_dual_fmac_f32 v56, 0x3dbcf732, v36 :: v_dual_add_f32 v145, v24, v145
	v_fma_f32 v151, 0xbe8c1d8e, v36, -v58
	v_mul_f32_e32 v108, 0x3f06c442, v46
	v_dual_fmac_f32 v58, 0xbe8c1d8e, v36 :: v_dual_add_f32 v61, v111, v61
	v_add_f32_e32 v154, v25, v154
	v_fmamk_f32 v156, v37, 0xbf59a7d5, v63
	v_fma_f32 v63, 0xbf59a7d5, v37, -v63
	v_mul_f32_e32 v128, 0xbeb8f4ab, v49
	v_mul_f32_e32 v49, 0xbf06c442, v49
	v_fma_f32 v155, 0xbf59a7d5, v36, -v62
	v_fmac_f32_e32 v62, 0xbf59a7d5, v36
	v_fma_f32 v36, 0xbf7ba420, v37, -v41
	v_fmamk_f32 v41, v44, 0x3f3d2fb0, v100
	v_fma_f32 v100, 0x3f3d2fb0, v44, -v100
	v_mul_f32_e32 v138, 0x3eb8f4ab, v34
	v_dual_mul_f32 v136, 0x3f763a35, v34 :: v_dual_add_f32 v149, v24, v149
	s_delay_alu instid0(VALU_DEP_4)
	v_add_f32_e32 v29, v41, v31
	v_fma_f32 v161, 0xbf1a4643, v43, -v104
	v_dual_mul_f32 v142, 0xbf06c442, v34 :: v_dual_add_f32 v151, v24, v151
	v_fma_f32 v165, 0xbf59a7d5, v43, -v108
	v_fmamk_f32 v164, v44, 0xbf7ba420, v107
	v_fma_f32 v107, 0xbf7ba420, v44, -v107
	v_fmamk_f32 v150, v37, 0x3dbcf732, v57
	v_fma_f32 v57, 0x3dbcf732, v37, -v57
	v_dual_add_f32 v31, v100, v39 :: v_dual_fmamk_f32 v192, v27, 0x3f6eb680, v138
	v_dual_add_f32 v13, v13, v1 :: v_dual_mul_f32 v106, 0xbe3c28d5, v46
	s_delay_alu instid0(VALU_DEP_3) | instskip(SKIP_1) | instid1(VALU_DEP_3)
	v_add_f32_e32 v57, v25, v57
	v_dual_add_f32 v41, v161, v147 :: v_dual_fmamk_f32 v196, v27, 0xbf59a7d5, v142
	v_add_f32_e32 v13, v13, v3
	v_fma_f32 v103, 0x3dbcf732, v44, -v103
	v_fma_f32 v189, 0xbe8c1d8e, v26, -v135
	v_fmac_f32_e32 v135, 0xbe8c1d8e, v26
	v_fma_f32 v138, 0x3f6eb680, v27, -v138
	v_add_f32_e32 v146, v25, v146
	v_fmamk_f32 v148, v37, 0x3ee437d1, v55
	v_fma_f32 v55, 0x3ee437d1, v37, -v55
	v_dual_add_f32 v57, v107, v57 :: v_dual_add_f32 v150, v25, v150
	v_fmamk_f32 v152, v37, 0xbe8c1d8e, v59
	v_fma_f32 v59, 0xbe8c1d8e, v37, -v59
	v_fma_f32 v37, 0x3f3d2fb0, v43, -v99
	v_dual_fmac_f32 v99, 0x3f3d2fb0, v43 :: v_dual_add_f32 v52, v24, v52
	v_dual_add_f32 v13, v13, v9 :: v_dual_mul_f32 v140, 0xbf65296c, v34
	v_dual_add_f32 v39, v103, v53 :: v_dual_fmamk_f32 v174, v48, 0xbf1a4643, v117
	v_fma_f32 v117, 0xbf1a4643, v48, -v117
	v_fma_f32 v183, 0x3dbcf732, v47, -v129
	v_dual_fmac_f32 v129, 0x3dbcf732, v47 :: v_dual_add_f32 v56, v24, v56
	v_add_f32_e32 v13, v13, v11
	v_dual_add_f32 v63, v25, v63 :: v_dual_mul_f32 v102, 0xbf7ee86f, v46
	v_dual_add_f32 v55, v25, v55 :: v_dual_mul_f32 v112, 0x3f65296c, v46
	;; [unrolled: 1-line block ×3, first 2 shown]
	v_mul_f32_e32 v45, 0x3eb8f4ab, v45
	v_dual_mul_f32 v114, 0xbf65296c, v50 :: v_dual_mul_f32 v139, 0xbf65296c, v51
	v_fmamk_f32 v162, v44, 0xbf1a4643, v105
	v_fma_f32 v105, 0xbf1a4643, v44, -v105
	v_fmamk_f32 v166, v44, 0xbf59a7d5, v109
	v_fma_f32 v109, 0xbf59a7d5, v44, -v109
	v_fma_f32 v181, 0x3f6eb680, v47, -v127
	v_fmac_f32_e32 v127, 0x3f6eb680, v47
	v_fma_f32 v134, 0xbf7ba420, v27, -v134
	v_fma_f32 v197, 0xbf1a4643, v26, -v143
	v_add_f32_e32 v59, v109, v59
	v_fmac_f32_e32 v143, 0xbf1a4643, v26
	v_add_f32_e32 v30, v24, v30
	v_dual_add_f32 v58, v24, v58 :: v_dual_add_f32 v13, v13, v17
	v_add_f32_e32 v63, v113, v63
	v_dual_add_f32 v103, v168, v154 :: v_dual_add_f32 v156, v25, v156
	v_dual_add_f32 v39, v117, v39 :: v_dual_add_f32 v38, v24, v38
	v_dual_mul_f32 v116, 0xbf4c4adb, v50 :: v_dual_add_f32 v153, v24, v153
	v_mul_f32_e32 v122, 0x3f2c7751, v50
	v_dual_mul_f32 v50, 0xbf06c442, v50 :: v_dual_mul_f32 v141, 0xbf06c442, v51
	v_mul_f32_e32 v131, 0xbf7ee86f, v51
	v_fma_f32 v159, 0x3dbcf732, v43, -v102
	v_fmac_f32_e32 v102, 0x3dbcf732, v43
	v_fma_f32 v163, 0xbf7ba420, v43, -v106
	v_fmac_f32_e32 v108, 0xbf59a7d5, v43
	;; [unrolled: 2-line block ×3, first 2 shown]
	v_fma_f32 v171, 0x3f6eb680, v43, -v46
	v_fmamk_f32 v172, v44, 0x3f6eb680, v45
	v_fmac_f32_e32 v46, 0x3f6eb680, v43
	v_fma_f32 v175, 0xbf7ba420, v47, -v118
	v_fma_f32 v177, 0xbe8c1d8e, v47, -v120
	v_fmac_f32_e32 v118, 0xbf7ba420, v47
	v_fmamk_f32 v176, v48, 0xbf7ba420, v119
	v_fma_f32 v119, 0xbf7ba420, v48, -v119
	v_fmamk_f32 v178, v48, 0xbe8c1d8e, v121
	v_fma_f32 v121, 0xbe8c1d8e, v48, -v121
	v_fma_f32 v191, 0x3f6eb680, v26, -v137
	v_dual_add_f32 v60, v24, v60 :: v_dual_add_f32 v13, v13, v19
	v_add_f32_e32 v155, v24, v155
	v_fmamk_f32 v180, v48, 0x3f3d2fb0, v126
	v_fma_f32 v126, 0x3f3d2fb0, v48, -v126
	v_add_f32_e32 v12, v28, v12
	v_add_f32_e32 v28, v37, v30
	v_dual_add_f32 v37, v160, v146 :: v_dual_add_f32 v148, v25, v148
	v_add_f32_e32 v53, v105, v55
	v_dual_add_f32 v105, v170, v156 :: v_dual_add_f32 v158, v25, v158
	v_fmac_f32_e32 v104, 0xbf1a4643, v43
	v_dual_add_f32 v39, v134, v39 :: v_dual_add_f32 v30, v99, v38
	v_add_f32_e32 v99, v165, v151
	v_dual_add_f32 v55, v164, v150 :: v_dual_add_f32 v152, v25, v152
	v_dual_add_f32 v25, v25, v36 :: v_dual_fmac_f32 v106, 0xbf7ba420, v43
	v_fma_f32 v43, 0x3f6eb680, v44, -v45
	v_fma_f32 v44, 0x3ee437d1, v47, -v114
	v_mul_f32_e32 v51, 0x3f2c7751, v51
	v_dual_fmac_f32 v114, 0x3ee437d1, v47 :: v_dual_add_f32 v37, v174, v37
	v_fma_f32 v173, 0xbf1a4643, v47, -v116
	v_dual_fmac_f32 v116, 0xbf1a4643, v47 :: v_dual_add_f32 v41, v175, v41
	v_fma_f32 v179, 0x3f3d2fb0, v47, -v122
	v_fmamk_f32 v182, v48, 0x3f6eb680, v128
	v_fma_f32 v128, 0x3f6eb680, v48, -v128
	v_fmac_f32_e32 v122, 0x3f3d2fb0, v47
	v_fma_f32 v185, 0xbf59a7d5, v47, -v50
	v_dual_add_f32 v100, v166, v152 :: v_dual_add_f32 v25, v43, v25
	v_fmac_f32_e32 v50, 0xbf59a7d5, v47
	v_add_f32_e32 v28, v44, v28
	v_add_f32_e32 v44, v119, v53
	;; [unrolled: 1-line block ×4, first 2 shown]
	v_fmac_f32_e32 v120, 0xbe8c1d8e, v47
	v_fmamk_f32 v47, v48, 0xbf59a7d5, v49
	v_dual_add_f32 v62, v24, v62 :: v_dual_add_f32 v13, v13, v21
	v_add_f32_e32 v60, v110, v60
	v_dual_mul_f32 v132, 0xbf7ee86f, v34 :: v_dual_add_f32 v157, v24, v157
	v_fmamk_f32 v45, v48, 0x3ee437d1, v115
	s_delay_alu instid0(VALU_DEP_4)
	v_dual_add_f32 v13, v13, v23 :: v_dual_add_f32 v12, v12, v14
	v_fma_f32 v115, 0x3ee437d1, v48, -v115
	v_fmamk_f32 v184, v48, 0x3dbcf732, v130
	v_fma_f32 v130, 0x3dbcf732, v48, -v130
	v_fma_f32 v48, 0xbf59a7d5, v48, -v49
	v_add_f32_e32 v12, v12, v4
	v_fma_f32 v49, 0x3dbcf732, v26, -v131
	v_fma_f32 v187, 0xbf7ba420, v26, -v133
	v_fmac_f32_e32 v133, 0xbf7ba420, v26
	v_fma_f32 v195, 0xbf59a7d5, v26, -v141
	v_add_f32_e32 v12, v12, v6
	v_fmac_f32_e32 v141, 0xbf59a7d5, v26
	v_dual_add_f32 v54, v24, v54 :: v_dual_add_f32 v41, v189, v41
	v_dual_fmamk_f32 v186, v27, 0x3dbcf732, v132 :: v_dual_add_f32 v63, v130, v63
	s_delay_alu instid0(VALU_DEP_4) | instskip(SKIP_3) | instid1(VALU_DEP_4)
	v_add_f32_e32 v12, v12, v0
	v_fma_f32 v132, 0x3dbcf732, v27, -v132
	v_fmac_f32_e32 v137, 0x3f6eb680, v26
	v_dual_fmamk_f32 v198, v27, 0xbf1a4643, v144 :: v_dual_add_f32 v37, v188, v37
	v_add_f32_e32 v12, v12, v2
	v_fma_f32 v144, 0xbf1a4643, v27, -v144
	v_add_f32_e32 v29, v45, v29
	v_add_f32_e32 v31, v115, v31
	v_fmamk_f32 v194, v27, 0x3ee437d1, v140
	v_add_f32_e32 v12, v12, v8
	v_dual_add_f32 v28, v49, v28 :: v_dual_add_f32 v49, v138, v53
	v_fmac_f32_e32 v131, 0x3dbcf732, v26
	v_dual_fmamk_f32 v190, v27, 0xbe8c1d8e, v136 :: v_dual_add_f32 v29, v186, v29
	s_delay_alu instid0(VALU_DEP_4) | instskip(SKIP_3) | instid1(VALU_DEP_4)
	v_add_f32_e32 v12, v12, v10
	v_dual_add_f32 v38, v102, v52 :: v_dual_add_f32 v13, v13, v33
	v_add_f32_e32 v58, v108, v58
	v_add_f32_e32 v31, v132, v31
	;; [unrolled: 1-line block ×4, first 2 shown]
	v_fma_f32 v193, 0x3ee437d1, v26, -v139
	v_fmac_f32_e32 v139, 0x3ee437d1, v26
	v_fma_f32 v140, 0x3ee437d1, v27, -v140
	v_add_f32_e32 v12, v12, v18
	v_fma_f32 v199, 0x3f3d2fb0, v26, -v51
	v_add_f32_e32 v25, v48, v25
	v_fmac_f32_e32 v51, 0x3f3d2fb0, v26
	v_fma_f32 v136, 0xbe8c1d8e, v27, -v136
	v_add_f32_e32 v12, v12, v20
	v_fma_f32 v142, 0xbf59a7d5, v27, -v142
	s_delay_alu instid0(VALU_DEP_2) | instskip(NEXT) | instid1(VALU_DEP_1)
	v_add_f32_e32 v12, v12, v22
	v_add_f32_e32 v12, v12, v32
	v_mul_f32_e32 v32, 0x3f2c7751, v34
	v_sub_f32_e32 v34, v15, v17
	v_add_f32_e32 v60, v127, v60
	v_add_f32_e32 v24, v24, v42
	v_dual_add_f32 v102, v167, v153 :: v_dual_add_f32 v15, v17, v15
	v_add_f32_e32 v56, v106, v56
	s_delay_alu instid0(VALU_DEP_4) | instskip(NEXT) | instid1(VALU_DEP_4)
	v_add_f32_e32 v53, v141, v60
	v_add_f32_e32 v24, v46, v24
	v_dual_add_f32 v46, v178, v55 :: v_dual_add_f32 v55, v180, v100
	v_add_f32_e32 v36, v159, v145
	s_delay_alu instid0(VALU_DEP_2) | instskip(SKIP_4) | instid1(VALU_DEP_3)
	v_add_f32_e32 v18, v194, v55
	v_add_f32_e32 v55, v144, v63
	v_add_f32_e32 v107, v172, v158
	v_add_f32_e32 v52, v104, v54
	v_add_f32_e32 v54, v163, v149
	v_add_f32_e32 v47, v47, v107
	s_delay_alu instid0(VALU_DEP_2) | instskip(NEXT) | instid1(VALU_DEP_4)
	v_add_f32_e32 v45, v177, v54
	v_add_f32_e32 v43, v118, v52
	;; [unrolled: 1-line block ×4, first 2 shown]
	s_delay_alu instid0(VALU_DEP_4) | instskip(SKIP_1) | instid1(VALU_DEP_4)
	v_dual_add_f32 v58, v181, v102 :: v_dual_add_f32 v45, v191, v45
	v_add_f32_e32 v42, v162, v148
	v_add_f32_e32 v48, v137, v52
	;; [unrolled: 1-line block ×3, first 2 shown]
	s_delay_alu instid0(VALU_DEP_4)
	v_add_f32_e32 v20, v195, v58
	v_add_f32_e32 v58, v16, v14
	v_sub_f32_e32 v14, v14, v16
	v_fma_f32 v16, 0x3f3d2fb0, v27, -v32
	v_fmamk_f32 v57, v27, 0x3f3d2fb0, v32
	v_add_f32_e32 v106, v171, v157
	v_add_f32_e32 v54, v179, v99
	v_mul_f32_e32 v26, 0xbf763a35, v14
	v_add_f32_e32 v16, v16, v25
	v_mul_f32_e32 v32, 0x3f06c442, v14
	v_dual_add_f32 v38, v116, v38 :: v_dual_add_f32 v27, v57, v47
	s_delay_alu instid0(VALU_DEP_4) | instskip(SKIP_2) | instid1(VALU_DEP_4)
	v_fmamk_f32 v25, v15, 0xbe8c1d8e, v26
	v_fma_f32 v26, 0xbe8c1d8e, v15, -v26
	v_mul_f32_e32 v47, 0x3f2c7751, v34
	v_dual_add_f32 v38, v133, v38 :: v_dual_add_f32 v43, v135, v43
	s_delay_alu instid0(VALU_DEP_3) | instskip(SKIP_3) | instid1(VALU_DEP_3)
	v_dual_add_f32 v25, v25, v29 :: v_dual_add_f32 v26, v26, v31
	v_dual_fmamk_f32 v31, v15, 0xbf59a7d5, v32 :: v_dual_add_f32 v104, v169, v155
	v_fma_f32 v32, 0xbf59a7d5, v15, -v32
	v_add_f32_e32 v19, v139, v56
	v_add_f32_e32 v31, v31, v37
	s_delay_alu instid0(VALU_DEP_4) | instskip(SKIP_2) | instid1(VALU_DEP_3)
	v_add_f32_e32 v99, v183, v104
	v_add_f32_e32 v59, v182, v103
	v_dual_mul_f32 v37, 0x3f2c7751, v14 :: v_dual_add_f32 v32, v32, v39
	v_add_f32_e32 v23, v197, v99
	s_delay_alu instid0(VALU_DEP_3) | instskip(SKIP_1) | instid1(VALU_DEP_4)
	v_add_f32_e32 v21, v196, v59
	v_mul_f32_e32 v59, 0xbf763a35, v34
	v_dual_fmamk_f32 v39, v15, 0x3f3d2fb0, v37 :: v_dual_add_f32 v24, v50, v24
	v_fma_f32 v37, 0x3f3d2fb0, v15, -v37
	v_add_co_u32 v99, s2, 0xffffffef, v123
	s_delay_alu instid0(VALU_DEP_4) | instskip(NEXT) | instid1(VALU_DEP_4)
	v_fma_f32 v17, 0xbe8c1d8e, v58, -v59
	v_dual_add_f32 v24, v51, v24 :: v_dual_mul_f32 v51, 0xbf65296c, v14
	v_add_f32_e32 v42, v176, v42
	v_fmac_f32_e32 v59, 0xbe8c1d8e, v58
	s_delay_alu instid0(VALU_DEP_4) | instskip(NEXT) | instid1(VALU_DEP_3)
	v_dual_add_f32 v17, v17, v28 :: v_dual_mul_f32 v28, 0x3f06c442, v34
	v_add_f32_e32 v42, v190, v42
	v_add_f32_e32 v36, v173, v36
	s_delay_alu instid0(VALU_DEP_3) | instskip(SKIP_1) | instid1(VALU_DEP_4)
	v_fma_f32 v29, 0xbf59a7d5, v58, -v28
	v_fmac_f32_e32 v28, 0xbf59a7d5, v58
	v_add_f32_e32 v39, v39, v42
	s_delay_alu instid0(VALU_DEP_4) | instskip(SKIP_1) | instid1(VALU_DEP_4)
	v_add_f32_e32 v36, v187, v36
	v_add_f32_e32 v62, v112, v62
	;; [unrolled: 1-line block ×3, first 2 shown]
	s_delay_alu instid0(VALU_DEP_3) | instskip(SKIP_1) | instid1(VALU_DEP_1)
	v_dual_mul_f32 v38, 0xbf65296c, v34 :: v_dual_add_f32 v29, v29, v36
	v_fma_f32 v36, 0x3f3d2fb0, v58, -v47
	v_dual_fmac_f32 v47, 0x3f3d2fb0, v58 :: v_dual_add_f32 v36, v36, v41
	s_delay_alu instid0(VALU_DEP_3) | instskip(NEXT) | instid1(VALU_DEP_2)
	v_fma_f32 v41, 0x3ee437d1, v58, -v38
	v_dual_add_f32 v42, v47, v43 :: v_dual_mul_f32 v47, 0xbe3c28d5, v14
	v_add_f32_e32 v44, v136, v44
	s_delay_alu instid0(VALU_DEP_3) | instskip(SKIP_2) | instid1(VALU_DEP_4)
	v_dual_add_f32 v30, v114, v30 :: v_dual_add_f32 v41, v41, v45
	v_fma_f32 v45, 0x3ee437d1, v15, -v51
	v_fmamk_f32 v43, v15, 0x3ee437d1, v51
	v_dual_add_f32 v37, v37, v44 :: v_dual_mul_f32 v44, 0xbe3c28d5, v34
	s_delay_alu instid0(VALU_DEP_3) | instskip(SKIP_3) | instid1(VALU_DEP_4)
	v_dual_fmac_f32 v38, 0x3ee437d1, v58 :: v_dual_add_f32 v45, v45, v49
	v_add_f32_e32 v46, v192, v46
	v_mul_f32_e32 v49, 0x3f7ee86f, v34
	v_add_f32_e32 v50, v193, v54
	v_add_f32_e32 v38, v38, v48
	v_fmamk_f32 v48, v15, 0xbf7ba420, v47
	v_add_f32_e32 v43, v43, v46
	v_fma_f32 v46, 0xbf7ba420, v58, -v44
	v_fmac_f32_e32 v44, 0xbf7ba420, v58
	v_fma_f32 v47, 0xbf7ba420, v15, -v47
	v_add_f32_e32 v18, v48, v18
	v_fma_f32 v48, 0x3dbcf732, v58, -v49
	v_add_f32_e32 v46, v46, v50
	v_dual_mul_f32 v50, 0x3f7ee86f, v14 :: v_dual_add_f32 v19, v44, v19
	v_dual_add_f32 v44, v47, v52 :: v_dual_mul_f32 v47, 0xbeb8f4ab, v34
	v_dual_add_f32 v100, v184, v105 :: v_dual_fmac_f32 v49, 0x3dbcf732, v58
	v_add_f32_e32 v22, v142, v61
	v_add_f32_e32 v20, v48, v20
	v_fmamk_f32 v48, v15, 0x3dbcf732, v50
	v_fma_f32 v50, 0x3dbcf732, v15, -v50
	v_fma_f32 v51, 0x3f6eb680, v58, -v47
	v_add_f32_e32 v62, v129, v62
	v_mul_f32_e32 v52, 0xbeb8f4ab, v14
	v_mul_f32_e32 v14, 0xbf4c4adb, v14
	v_dual_add_f32 v102, v185, v106 :: v_dual_add_f32 v21, v48, v21
	v_add_f32_e32 v48, v49, v53
	v_dual_add_f32 v22, v50, v22 :: v_dual_add_f32 v23, v51, v23
	v_add_f32_e32 v33, v143, v62
	v_fmamk_f32 v49, v15, 0x3f6eb680, v52
	v_fmac_f32_e32 v47, 0x3f6eb680, v58
	v_fma_f32 v50, 0x3f6eb680, v15, -v52
	v_fmamk_f32 v52, v15, 0xbf1a4643, v14
	v_add_f32_e32 v30, v131, v30
	s_delay_alu instid0(VALU_DEP_4) | instskip(NEXT) | instid1(VALU_DEP_4)
	v_dual_mul_f32 v34, 0xbf4c4adb, v34 :: v_dual_add_f32 v33, v47, v33
	v_add_f32_e32 v47, v50, v55
	v_sub_f32_e32 v50, v5, v11
	v_dual_add_f32 v27, v52, v27 :: v_dual_add_f32 v52, v10, v4
	v_sub_f32_e32 v4, v4, v10
	v_fma_f32 v51, 0xbf1a4643, v58, -v34
	s_delay_alu instid0(VALU_DEP_4)
	v_mul_f32_e32 v10, 0xbf4c4adb, v50
	v_fmac_f32_e32 v34, 0xbf1a4643, v58
	v_fma_f32 v14, 0xbf1a4643, v15, -v14
	v_add_f32_e32 v5, v11, v5
	v_mul_f32_e32 v11, 0xbf4c4adb, v4
	v_fma_f32 v15, 0xbf1a4643, v52, -v10
	v_add_f32_e32 v24, v34, v24
	v_add_f32_e32 v14, v14, v16
	v_mul_f32_e32 v16, 0x3f763a35, v50
	v_fmamk_f32 v34, v5, 0xbf1a4643, v11
	v_fma_f32 v11, 0xbf1a4643, v5, -v11
	v_add_f32_e32 v30, v59, v30
	v_dual_add_f32 v15, v15, v17 :: v_dual_fmac_f32 v10, 0xbf1a4643, v52
	v_fma_f32 v17, 0xbe8c1d8e, v52, -v16
	v_dual_add_f32 v25, v34, v25 :: v_dual_mul_f32 v34, 0x3f763a35, v4
	v_add_f32_e32 v11, v11, v26
	v_mul_f32_e32 v26, 0xbeb8f4ab, v50
	s_delay_alu instid0(VALU_DEP_4) | instskip(NEXT) | instid1(VALU_DEP_4)
	v_dual_add_f32 v10, v10, v30 :: v_dual_add_f32 v17, v17, v29
	v_fmamk_f32 v29, v5, 0xbe8c1d8e, v34
	v_fmac_f32_e32 v16, 0xbe8c1d8e, v52
	v_fma_f32 v30, 0xbe8c1d8e, v5, -v34
	v_mul_f32_e32 v34, 0xbeb8f4ab, v4
	v_fma_f32 v53, 0x3f6eb680, v52, -v26
	s_delay_alu instid0(VALU_DEP_4) | instskip(NEXT) | instid1(VALU_DEP_4)
	v_dual_add_f32 v29, v29, v31 :: v_dual_add_f32 v16, v16, v28
	v_add_f32_e32 v28, v30, v32
	s_delay_alu instid0(VALU_DEP_4) | instskip(NEXT) | instid1(VALU_DEP_4)
	v_fmamk_f32 v30, v5, 0x3f6eb680, v34
	v_dual_add_f32 v31, v53, v36 :: v_dual_mul_f32 v32, 0xbf06c442, v50
	v_fmac_f32_e32 v26, 0x3f6eb680, v52
	v_fma_f32 v34, 0x3f6eb680, v5, -v34
	v_mul_f32_e32 v36, 0xbf06c442, v4
	v_add_f32_e32 v30, v30, v39
	v_fma_f32 v39, 0xbf59a7d5, v52, -v32
	v_add_f32_e32 v26, v26, v42
	v_dual_add_f32 v34, v34, v37 :: v_dual_mul_f32 v37, 0x3f7ee86f, v50
	s_delay_alu instid0(VALU_DEP_3) | instskip(SKIP_2) | instid1(VALU_DEP_4)
	v_dual_fmamk_f32 v42, v5, 0xbf59a7d5, v36 :: v_dual_add_f32 v39, v39, v41
	v_fmac_f32_e32 v32, 0xbf59a7d5, v52
	v_fma_f32 v36, 0xbf59a7d5, v5, -v36
	v_fma_f32 v41, 0x3dbcf732, v52, -v37
	s_delay_alu instid0(VALU_DEP_4) | instskip(NEXT) | instid1(VALU_DEP_4)
	v_dual_add_f32 v42, v42, v43 :: v_dual_mul_f32 v43, 0x3f7ee86f, v4
	v_add_f32_e32 v32, v32, v38
	s_delay_alu instid0(VALU_DEP_4) | instskip(NEXT) | instid1(VALU_DEP_4)
	v_add_f32_e32 v36, v36, v45
	v_dual_add_f32 v38, v41, v46 :: v_dual_fmac_f32 v37, 0x3dbcf732, v52
	s_delay_alu instid0(VALU_DEP_4) | instskip(SKIP_3) | instid1(VALU_DEP_4)
	v_fmamk_f32 v45, v5, 0x3dbcf732, v43
	v_fma_f32 v43, 0x3dbcf732, v5, -v43
	v_mul_f32_e32 v46, 0xbf2c7751, v4
	v_dual_add_f32 v54, v198, v100 :: v_dual_mul_f32 v41, 0xbf2c7751, v50
	v_add_f32_e32 v18, v45, v18
	v_add_f32_e32 v19, v37, v19
	v_add_f32_e32 v37, v43, v44
	v_fmamk_f32 v43, v5, 0x3f3d2fb0, v46
	v_mul_f32_e32 v44, 0xbe3c28d5, v50
	v_fma_f32 v45, 0x3f3d2fb0, v5, -v46
	v_add_f32_e32 v56, v199, v102
	v_fma_f32 v53, 0x3f3d2fb0, v52, -v41
	v_fmac_f32_e32 v41, 0x3f3d2fb0, v52
	v_add_f32_e32 v21, v43, v21
	v_mul_f32_e32 v43, 0xbe3c28d5, v4
	v_fma_f32 v46, 0xbf7ba420, v52, -v44
	v_add_f32_e32 v22, v45, v22
	v_mul_f32_e32 v45, 0x3f65296c, v50
	v_add_f32_e32 v49, v49, v54
	v_add_f32_e32 v51, v51, v56
	v_add_f32_e32 v41, v41, v48
	v_dual_fmamk_f32 v48, v5, 0xbf7ba420, v43 :: v_dual_add_f32 v23, v46, v23
	v_fmac_f32_e32 v44, 0xbf7ba420, v52
	v_fma_f32 v46, 0x3ee437d1, v52, -v45
	v_fma_f32 v43, 0xbf7ba420, v5, -v43
	v_mul_f32_e32 v4, 0x3f65296c, v4
	v_sub_f32_e32 v50, v0, v2
	v_add_f32_e32 v48, v48, v49
	v_dual_add_f32 v33, v44, v33 :: v_dual_add_f32 v44, v46, v51
	v_dual_sub_f32 v46, v7, v9 :: v_dual_sub_f32 v49, v6, v8
	v_add_f32_e32 v43, v43, v47
	v_fmamk_f32 v47, v5, 0x3ee437d1, v4
	v_dual_fmac_f32 v45, 0x3ee437d1, v52 :: v_dual_add_f32 v6, v8, v6
	s_delay_alu instid0(VALU_DEP_4)
	v_mul_f32_e32 v8, 0xbf06c442, v46
	v_fma_f32 v4, 0x3ee437d1, v5, -v4
	v_add_f32_e32 v5, v9, v7
	v_mul_f32_e32 v7, 0xbf06c442, v49
	v_add_f32_e32 v9, v47, v27
	v_fma_f32 v27, 0xbf59a7d5, v6, -v8
	v_add_f32_e32 v24, v45, v24
	v_add_f32_e32 v4, v4, v14
	v_fmamk_f32 v14, v5, 0xbf59a7d5, v7
	v_mul_f32_e32 v45, 0x3f65296c, v46
	v_dual_add_f32 v15, v27, v15 :: v_dual_fmac_f32 v8, 0xbf59a7d5, v6
	v_fma_f32 v7, 0xbf59a7d5, v5, -v7
	s_delay_alu instid0(VALU_DEP_4) | instskip(NEXT) | instid1(VALU_DEP_4)
	v_add_f32_e32 v14, v14, v25
	v_fma_f32 v25, 0x3ee437d1, v6, -v45
	s_delay_alu instid0(VALU_DEP_4) | instskip(NEXT) | instid1(VALU_DEP_4)
	v_dual_mul_f32 v27, 0x3f65296c, v49 :: v_dual_add_f32 v8, v8, v10
	v_dual_add_f32 v7, v7, v11 :: v_dual_mul_f32 v10, 0xbf7ee86f, v46
	s_delay_alu instid0(VALU_DEP_3) | instskip(NEXT) | instid1(VALU_DEP_3)
	v_add_f32_e32 v11, v25, v17
	v_fmamk_f32 v17, v5, 0x3ee437d1, v27
	v_fma_f32 v25, 0x3ee437d1, v5, -v27
	v_mul_f32_e32 v47, 0xbf7ee86f, v49
	v_fmac_f32_e32 v45, 0x3ee437d1, v6
	v_fma_f32 v27, 0x3dbcf732, v6, -v10
	v_add_f32_e32 v17, v17, v29
	v_add_f32_e32 v25, v25, v28
	v_fmamk_f32 v28, v5, 0x3dbcf732, v47
	v_dual_mul_f32 v29, 0x3f4c4adb, v46 :: v_dual_add_f32 v16, v45, v16
	v_dual_add_f32 v27, v27, v31 :: v_dual_fmac_f32 v10, 0x3dbcf732, v6
	v_fma_f32 v31, 0x3dbcf732, v5, -v47
	s_delay_alu instid0(VALU_DEP_4) | instskip(NEXT) | instid1(VALU_DEP_4)
	v_dual_mul_f32 v45, 0x3f4c4adb, v49 :: v_dual_add_f32 v28, v28, v30
	v_fma_f32 v30, 0xbf1a4643, v6, -v29
	s_delay_alu instid0(VALU_DEP_4) | instskip(NEXT) | instid1(VALU_DEP_3)
	v_add_f32_e32 v10, v10, v26
	v_dual_add_f32 v26, v31, v34 :: v_dual_fmamk_f32 v31, v5, 0xbf1a4643, v45
	v_mul_f32_e32 v34, 0xbeb8f4ab, v46
	s_delay_alu instid0(VALU_DEP_4) | instskip(SKIP_1) | instid1(VALU_DEP_4)
	v_dual_add_f32 v30, v30, v39 :: v_dual_fmac_f32 v29, 0xbf1a4643, v6
	v_fma_f32 v39, 0xbf1a4643, v5, -v45
	v_add_f32_e32 v31, v31, v42
	s_delay_alu instid0(VALU_DEP_4)
	v_fma_f32 v42, 0x3f6eb680, v6, -v34
	v_mul_f32_e32 v45, 0xbeb8f4ab, v49
	v_add_f32_e32 v29, v29, v32
	v_add_f32_e32 v32, v39, v36
	v_mul_f32_e32 v36, 0xbe3c28d5, v46
	v_add_f32_e32 v20, v53, v20
	v_dual_add_f32 v38, v42, v38 :: v_dual_fmamk_f32 v39, v5, 0x3f6eb680, v45
	v_fma_f32 v42, 0x3f6eb680, v5, -v45
	s_delay_alu instid0(VALU_DEP_4) | instskip(SKIP_3) | instid1(VALU_DEP_4)
	v_fma_f32 v45, 0xbf7ba420, v6, -v36
	v_mul_f32_e32 v47, 0xbe3c28d5, v49
	v_fmac_f32_e32 v34, 0x3f6eb680, v6
	v_add_f32_e32 v39, v39, v18
	v_dual_add_f32 v37, v42, v37 :: v_dual_add_f32 v42, v45, v20
	s_delay_alu instid0(VALU_DEP_4)
	v_fmamk_f32 v18, v5, 0xbf7ba420, v47
	v_mul_f32_e32 v20, 0x3f2c7751, v49
	v_dual_add_f32 v34, v34, v19 :: v_dual_mul_f32 v19, 0x3f2c7751, v46
	v_fmac_f32_e32 v36, 0xbf7ba420, v6
	v_fma_f32 v45, 0xbf7ba420, v5, -v47
	v_add_f32_e32 v47, v18, v21
	v_fmamk_f32 v21, v5, 0x3f3d2fb0, v20
	v_fma_f32 v18, 0x3f3d2fb0, v6, -v19
	s_delay_alu instid0(VALU_DEP_4) | instskip(SKIP_1) | instid1(VALU_DEP_4)
	v_dual_add_f32 v36, v36, v41 :: v_dual_add_f32 v41, v45, v22
	v_mul_f32_e32 v22, 0xbf763a35, v46
	v_dual_fmac_f32 v19, 0x3f3d2fb0, v6 :: v_dual_add_f32 v46, v21, v48
	v_dual_sub_f32 v48, v1, v3 :: v_dual_mul_f32 v21, 0xbf763a35, v49
	v_add_f32_e32 v49, v2, v0
	s_delay_alu instid0(VALU_DEP_3) | instskip(SKIP_1) | instid1(VALU_DEP_4)
	v_add_f32_e32 v33, v19, v33
	v_add_f32_e32 v51, v3, v1
	v_mul_f32_e32 v19, 0xbe3c28d5, v48
	v_fma_f32 v0, 0xbe8c1d8e, v5, -v21
	v_dual_mul_f32 v2, 0xbe3c28d5, v50 :: v_dual_add_f32 v45, v18, v23
	v_fma_f32 v18, 0x3f3d2fb0, v5, -v20
	s_delay_alu instid0(VALU_DEP_4)
	v_fma_f32 v1, 0xbf7ba420, v49, -v19
	v_fma_f32 v20, 0xbe8c1d8e, v6, -v22
	v_fmac_f32_e32 v22, 0xbe8c1d8e, v6
	v_add_f32_e32 v54, v0, v4
	v_mul_f32_e32 v6, 0x3eb8f4ab, v48
	v_dual_add_f32 v0, v1, v15 :: v_dual_fmamk_f32 v1, v51, 0xbf7ba420, v2
	v_dual_add_f32 v43, v18, v43 :: v_dual_fmamk_f32 v18, v5, 0xbe8c1d8e, v21
	v_fmac_f32_e32 v19, 0xbf7ba420, v49
	v_fma_f32 v3, 0xbf7ba420, v51, -v2
	v_mul_f32_e32 v5, 0x3eb8f4ab, v50
	v_add_f32_e32 v1, v1, v14
	v_fma_f32 v4, 0x3f6eb680, v49, -v6
	v_mul_f32_e32 v14, 0xbf06c442, v48
	v_fmac_f32_e32 v6, 0x3f6eb680, v49
	v_add_f32_e32 v52, v18, v9
	v_add_f32_e32 v2, v19, v8
	;; [unrolled: 1-line block ×3, first 2 shown]
	v_dual_fmamk_f32 v7, v51, 0x3f6eb680, v5 :: v_dual_add_f32 v4, v4, v11
	v_fma_f32 v8, 0x3f6eb680, v51, -v5
	v_fma_f32 v9, 0xbf59a7d5, v49, -v14
	v_dual_mul_f32 v11, 0xbf06c442, v50 :: v_dual_add_f32 v6, v6, v16
	s_delay_alu instid0(VALU_DEP_4) | instskip(NEXT) | instid1(VALU_DEP_3)
	v_dual_mul_f32 v16, 0x3f2c7751, v48 :: v_dual_add_f32 v5, v7, v17
	v_dual_add_f32 v7, v8, v25 :: v_dual_add_f32 v8, v9, v27
	s_delay_alu instid0(VALU_DEP_3) | instskip(NEXT) | instid1(VALU_DEP_3)
	v_dual_fmamk_f32 v9, v51, 0xbf59a7d5, v11 :: v_dual_fmac_f32 v14, 0xbf59a7d5, v49
	v_fma_f32 v15, 0x3f3d2fb0, v49, -v16
	v_mul_f32_e32 v17, 0x3f2c7751, v50
	v_fma_f32 v11, 0xbf59a7d5, v51, -v11
	s_delay_alu instid0(VALU_DEP_4) | instskip(NEXT) | instid1(VALU_DEP_4)
	v_dual_add_f32 v9, v9, v28 :: v_dual_add_f32 v10, v14, v10
	v_add_f32_e32 v14, v15, v30
	s_delay_alu instid0(VALU_DEP_4) | instskip(SKIP_3) | instid1(VALU_DEP_4)
	v_dual_fmamk_f32 v15, v51, 0x3f3d2fb0, v17 :: v_dual_fmac_f32 v16, 0x3f3d2fb0, v49
	v_fma_f32 v17, 0x3f3d2fb0, v51, -v17
	v_dual_mul_f32 v28, 0xbf763a35, v48 :: v_dual_mul_f32 v27, 0xbf763a35, v50
	v_add_f32_e32 v11, v11, v26
	v_dual_mul_f32 v19, 0xbf4c4adb, v50 :: v_dual_add_f32 v16, v16, v29
	s_delay_alu instid0(VALU_DEP_4) | instskip(NEXT) | instid1(VALU_DEP_4)
	v_add_f32_e32 v17, v17, v32
	v_fma_f32 v26, 0xbe8c1d8e, v49, -v28
	v_dual_fmamk_f32 v29, v51, 0xbe8c1d8e, v27 :: v_dual_add_f32 v44, v20, v44
	v_mul_f32_e32 v20, 0xbf4c4adb, v48
	v_fmac_f32_e32 v28, 0xbe8c1d8e, v49
	v_mul_f32_e32 v32, 0x3f7ee86f, v48
	v_add_f32_e32 v53, v22, v24
	v_fmamk_f32 v21, v51, 0xbf1a4643, v19
	v_fma_f32 v18, 0xbf1a4643, v49, -v20
	v_mul_f32_e32 v24, 0x3f65296c, v48
	v_fmac_f32_e32 v20, 0xbf1a4643, v49
	v_fma_f32 v22, 0xbf1a4643, v51, -v19
	v_mul_f32_e32 v30, 0x3f7ee86f, v50
	v_add_f32_e32 v28, v28, v33
	v_fma_f32 v33, 0x3dbcf732, v49, -v32
	v_add_f32_e32 v19, v21, v39
	v_fma_f32 v23, 0x3ee437d1, v49, -v24
	v_dual_add_f32 v20, v20, v34 :: v_dual_add_f32 v21, v22, v37
	v_fmac_f32_e32 v24, 0x3ee437d1, v49
	v_fmamk_f32 v34, v51, 0x3dbcf732, v30
	v_fmac_f32_e32 v32, 0x3dbcf732, v49
	v_fma_f32 v37, 0x3dbcf732, v51, -v30
	v_add_f32_e32 v30, v33, v44
	v_mul_lo_u16 v33, v35, 17
	v_dual_mul_f32 v25, 0x3f65296c, v50 :: v_dual_add_f32 v24, v24, v36
	v_add_f32_e32 v36, v32, v53
	s_wait_alu 0xf1ff
	v_add_co_ci_u32_e64 v100, null, 0, -1, s2
	v_and_b32_e32 v32, 0xffff, v33
	v_add_f32_e32 v22, v23, v42
	v_fmamk_f32 v23, v51, 0x3ee437d1, v25
	s_delay_alu instid0(VALU_DEP_4)
	v_cndmask_b32_e64 v33, v100, 0, vcc_lo
	v_add_f32_e32 v15, v15, v31
	v_lshl_add_u32 v127, v32, 3, v125
	v_cndmask_b32_e32 v32, v99, v123, vcc_lo
	v_dual_add_f32 v18, v18, v38 :: v_dual_add_f32 v23, v23, v47
	v_add_f32_e32 v26, v26, v45
	v_fma_f32 v31, 0xbe8c1d8e, v51, -v27
	v_add_f32_e32 v27, v29, v46
	ds_store_2addr_b64 v127, v[12:13], v[0:1] offset1:1
	ds_store_2addr_b64 v127, v[4:5], v[8:9] offset0:2 offset1:3
	ds_store_2addr_b64 v127, v[14:15], v[18:19] offset0:4 offset1:5
	ds_store_2addr_b64 v127, v[22:23], v[26:27] offset0:6 offset1:7
	v_lshlrev_b64_e32 v[0:1], 7, v[32:33]
	v_fma_f32 v25, 0x3ee437d1, v51, -v25
	v_add_f32_e32 v29, v31, v43
	v_add_f32_e32 v31, v34, v52
	;; [unrolled: 1-line block ×3, first 2 shown]
	v_add_co_u32 v0, s2, s10, v0
	s_wait_alu 0xf1ff
	v_add_co_ci_u32_e64 v1, s2, s11, v1, s2
	v_add_f32_e32 v25, v25, v41
	ds_store_2addr_b64 v127, v[30:31], v[36:37] offset0:8 offset1:9
	ds_store_2addr_b64 v127, v[28:29], v[24:25] offset0:10 offset1:11
	;; [unrolled: 1-line block ×4, first 2 shown]
	ds_store_b64 v127, v[2:3] offset:128
	global_wb scope:SCOPE_SE
	s_wait_dscnt 0x0
	s_barrier_signal -1
	s_barrier_wait -1
	global_inv scope:SCOPE_SE
	s_clause 0x7
	global_load_b128 v[28:31], v[0:1], off
	global_load_b128 v[24:27], v[0:1], off offset:16
	global_load_b128 v[20:23], v[0:1], off offset:32
	;; [unrolled: 1-line block ×7, first 2 shown]
	ds_load_2addr_b64 v[55:58], v124 offset1:34
	ds_load_2addr_b64 v[36:39], v124 offset0:68 offset1:102
	ds_load_2addr_b64 v[41:44], v124 offset0:136 offset1:170
	;; [unrolled: 1-line block ×7, first 2 shown]
	ds_load_b64 v[33:34], v124 offset:4352
	s_load_b64 s[2:3], s[0:1], 0x38
	v_cmp_lt_u16_e64 s0, 16, v35
	global_wb scope:SCOPE_SE
	s_wait_loadcnt_dscnt 0x0
	s_wait_kmcnt 0x0
	s_barrier_signal -1
	s_barrier_wait -1
	global_inv scope:SCOPE_SE
	s_wait_alu 0xf1ff
	v_cndmask_b32_e64 v35, 0, 0x121, s0
	v_mul_f32_e32 v45, v58, v29
	v_mul_f32_e32 v63, v57, v29
	;; [unrolled: 1-line block ×5, first 2 shown]
	v_fma_f32 v57, v57, v28, -v45
	v_mul_f32_e32 v45, v37, v31
	v_dual_fmac_f32 v63, v58, v28 :: v_dual_mul_f32 v58, v36, v31
	v_fma_f32 v120, v38, v24, -v46
	v_fmac_f32_e32 v118, v39, v24
	s_delay_alu instid0(VALU_DEP_4) | instskip(SKIP_4) | instid1(VALU_DEP_4)
	v_fma_f32 v119, v36, v30, -v45
	v_mul_f32_e32 v36, v42, v27
	v_dual_fmac_f32 v58, v37, v30 :: v_dual_mul_f32 v37, v60, v23
	v_add_f32_e32 v38, v56, v63
	v_mul_f32_e32 v39, v103, v7
	v_fma_f32 v54, v41, v26, -v36
	v_mul_f32_e32 v36, v44, v21
	v_fma_f32 v46, v59, v22, -v37
	v_dual_add_f32 v37, v55, v57 :: v_dual_add_f32 v38, v38, v58
	v_mul_f32_e32 v53, v41, v27
	s_delay_alu instid0(VALU_DEP_4) | instskip(SKIP_1) | instid1(VALU_DEP_4)
	v_fma_f32 v50, v43, v20, -v36
	v_fmac_f32_e32 v49, v44, v20
	v_add_f32_e32 v43, v37, v119
	v_fma_f32 v37, v102, v6, -v39
	v_dual_mul_f32 v39, v105, v17 :: v_dual_add_f32 v44, v38, v118
	v_dual_mul_f32 v38, v104, v17 :: v_dual_fmac_f32 v53, v42, v26
	v_mul_f32_e32 v45, v59, v23
	s_delay_alu instid0(VALU_DEP_3) | instskip(SKIP_1) | instid1(VALU_DEP_4)
	v_fma_f32 v39, v104, v16, -v39
	v_dual_mul_f32 v104, v117, v1 :: v_dual_add_f32 v43, v43, v120
	v_add_f32_e32 v44, v44, v53
	s_delay_alu instid0(VALU_DEP_4) | instskip(SKIP_1) | instid1(VALU_DEP_4)
	v_fmac_f32_e32 v45, v60, v22
	v_mul_f32_e32 v41, v61, v5
	v_fma_f32 v104, v116, v0, -v104
	v_add_f32_e32 v47, v43, v54
	v_mul_f32_e32 v43, v106, v19
	v_add_f32_e32 v51, v44, v49
	v_mul_f32_e32 v36, v62, v5
	v_add_f32_e32 v144, v119, v104
	v_dual_mul_f32 v48, v107, v19 :: v_dual_fmac_f32 v41, v62, v4
	v_dual_fmac_f32 v38, v105, v16 :: v_dual_add_f32 v47, v47, v50
	v_add_f32_e32 v51, v51, v45
	s_delay_alu instid0(VALU_DEP_3)
	v_fma_f32 v44, v106, v18, -v48
	v_mul_f32_e32 v106, v34, v3
	v_mul_f32_e32 v105, v33, v3
	v_fma_f32 v42, v61, v4, -v36
	v_add_f32_e32 v52, v47, v46
	v_mul_f32_e32 v59, v111, v15
	v_fma_f32 v33, v33, v2, -v106
	v_add_f32_e32 v61, v51, v41
	v_mul_f32_e32 v51, v110, v15
	v_fmac_f32_e32 v43, v107, v18
	v_add_f32_e32 v60, v52, v42
	v_add_f32_e32 v106, v57, v33
	v_dual_sub_f32 v57, v57, v33 :: v_dual_mul_f32 v36, v102, v7
	v_fma_f32 v52, v110, v14, -v59
	v_fmac_f32_e32 v51, v111, v14
	v_mul_f32_e32 v107, v116, v1
	s_delay_alu instid0(VALU_DEP_4)
	v_mul_f32_e32 v110, 0xbeb8f4ab, v57
	v_mul_f32_e32 v111, 0xbf2c7751, v57
	;; [unrolled: 1-line block ×7, first 2 shown]
	v_dual_mul_f32 v57, 0xbe3c28d5, v57 :: v_dual_fmac_f32 v36, v103, v6
	v_add_f32_e32 v59, v60, v37
	v_mul_f32_e32 v48, v109, v13
	v_mul_f32_e32 v47, v108, v13
	;; [unrolled: 1-line block ×3, first 2 shown]
	s_delay_alu instid0(VALU_DEP_4) | instskip(NEXT) | instid1(VALU_DEP_4)
	v_dual_add_f32 v60, v61, v36 :: v_dual_add_f32 v59, v59, v39
	v_fma_f32 v48, v108, v12, -v48
	s_delay_alu instid0(VALU_DEP_4) | instskip(NEXT) | instid1(VALU_DEP_3)
	v_fmac_f32_e32 v47, v109, v12
	v_dual_mul_f32 v61, v113, v9 :: v_dual_add_f32 v60, v60, v38
	s_delay_alu instid0(VALU_DEP_4) | instskip(SKIP_1) | instid1(VALU_DEP_3)
	v_add_f32_e32 v59, v59, v44
	v_dual_fmac_f32 v62, v113, v8 :: v_dual_fmac_f32 v105, v34, v2
	v_fma_f32 v61, v112, v8, -v61
	s_delay_alu instid0(VALU_DEP_3) | instskip(SKIP_2) | instid1(VALU_DEP_3)
	v_dual_add_f32 v60, v60, v43 :: v_dual_add_f32 v59, v59, v48
	v_fmac_f32_e32 v107, v117, v0
	v_mul_f32_e32 v103, v114, v11
	v_dual_add_f32 v60, v60, v47 :: v_dual_add_f32 v59, v59, v52
	s_delay_alu instid0(VALU_DEP_1) | instskip(NEXT) | instid1(VALU_DEP_1)
	v_dual_fmac_f32 v103, v115, v10 :: v_dual_add_f32 v60, v60, v51
	v_dual_add_f32 v34, v59, v61 :: v_dual_add_f32 v59, v60, v62
	v_sub_f32_e32 v60, v63, v105
	v_add_f32_e32 v63, v63, v105
	s_delay_alu instid0(VALU_DEP_3) | instskip(NEXT) | instid1(VALU_DEP_3)
	v_add_f32_e32 v59, v59, v103
	v_mul_f32_e32 v129, 0xbf763a35, v60
	v_mul_f32_e32 v117, 0xbf7ee86f, v60
	s_delay_alu instid0(VALU_DEP_4)
	v_fmamk_f32 v137, v63, 0xbf1a4643, v135
	v_mul_f32_e32 v133, 0xbf4c4adb, v60
	v_add_f32_e32 v59, v59, v107
	v_fma_f32 v131, 0xbe8c1d8e, v106, -v129
	v_fmac_f32_e32 v129, 0xbe8c1d8e, v106
	v_fma_f32 v122, 0x3dbcf732, v106, -v117
	v_fmac_f32_e32 v117, 0x3dbcf732, v106
	v_dual_add_f32 v137, v56, v137 :: v_dual_mul_f32 v108, 0xbeb8f4ab, v60
	s_delay_alu instid0(VALU_DEP_4)
	v_add_f32_e32 v129, v55, v129
	v_sub_f32_e32 v143, v58, v107
	v_add_f32_e32 v58, v58, v107
	v_mul_f32_e32 v102, v115, v11
	v_add_f32_e32 v117, v55, v117
	v_fma_f32 v109, 0x3f6eb680, v106, -v108
	v_fma_f32 v134, 0xbf1a4643, v106, -v133
	v_mul_f32_e32 v136, 0xbf06c442, v60
	v_fma_f32 v102, v114, v10, -v102
	v_mul_f32_e32 v114, 0xbf65296c, v60
	v_fmac_f32_e32 v133, 0xbf1a4643, v106
	v_fmamk_f32 v113, v63, 0x3f3d2fb0, v111
	v_fma_f32 v138, 0xbf59a7d5, v106, -v136
	v_add_f32_e32 v34, v34, v102
	v_fma_f32 v115, 0x3ee437d1, v106, -v114
	v_dual_fmac_f32 v114, 0x3ee437d1, v106 :: v_dual_add_f32 v133, v55, v133
	v_fmac_f32_e32 v108, 0x3f6eb680, v106
	s_delay_alu instid0(VALU_DEP_4) | instskip(SKIP_3) | instid1(VALU_DEP_4)
	v_add_f32_e32 v34, v34, v104
	v_dual_sub_f32 v104, v119, v104 :: v_dual_mul_f32 v119, 0xbf2c7751, v143
	v_fmac_f32_e32 v136, 0xbf59a7d5, v106
	v_fma_f32 v111, 0x3f3d2fb0, v63, -v111
	v_add_f32_e32 v33, v34, v33
	v_add_f32_e32 v34, v59, v105
	;; [unrolled: 1-line block ×3, first 2 shown]
	v_mul_f32_e32 v109, 0xbf2c7751, v60
	v_mul_f32_e32 v60, 0xbe3c28d5, v60
	v_fmamk_f32 v105, v63, 0x3f6eb680, v110
	v_fma_f32 v110, 0x3f6eb680, v63, -v110
	v_fmamk_f32 v121, v63, 0x3ee437d1, v116
	v_fma_f32 v112, 0x3f3d2fb0, v106, -v109
	v_fmac_f32_e32 v109, 0x3f3d2fb0, v106
	v_fma_f32 v141, 0xbf7ba420, v106, -v60
	v_fmac_f32_e32 v60, 0xbf7ba420, v106
	v_fma_f32 v106, 0x3f3d2fb0, v144, -v119
	v_fma_f32 v116, 0x3ee437d1, v63, -v116
	v_fmamk_f32 v132, v63, 0xbe8c1d8e, v130
	v_fma_f32 v130, 0xbe8c1d8e, v63, -v130
	v_fma_f32 v135, 0xbf1a4643, v63, -v135
	v_fmamk_f32 v140, v63, 0xbf59a7d5, v139
	v_fma_f32 v139, 0xbf59a7d5, v63, -v139
	v_fmamk_f32 v142, v63, 0xbf7ba420, v57
	v_fma_f32 v57, 0xbf7ba420, v63, -v57
	v_dual_add_f32 v59, v106, v59 :: v_dual_fmamk_f32 v128, v63, 0x3dbcf732, v126
	v_fma_f32 v126, 0x3dbcf732, v63, -v126
	v_mul_f32_e32 v63, 0xbf2c7751, v104
	v_dual_add_f32 v105, v56, v105 :: v_dual_add_f32 v108, v55, v108
	v_add_f32_e32 v110, v56, v110
	v_dual_add_f32 v112, v55, v112 :: v_dual_add_f32 v113, v56, v113
	v_add_f32_e32 v109, v55, v109
	v_add_f32_e32 v111, v56, v111
	v_add_f32_e32 v115, v55, v115
	v_dual_add_f32 v121, v56, v121 :: v_dual_add_f32 v114, v55, v114
	v_add_f32_e32 v116, v56, v116
	v_add_f32_e32 v122, v55, v122
	;; [unrolled: 4-line block ×3, first 2 shown]
	v_dual_add_f32 v134, v55, v134 :: v_dual_add_f32 v135, v56, v135
	v_add_f32_e32 v138, v55, v138
	v_add_f32_e32 v140, v56, v140
	v_dual_add_f32 v136, v55, v136 :: v_dual_add_f32 v139, v56, v139
	v_dual_add_f32 v141, v55, v141 :: v_dual_add_f32 v142, v56, v142
	;; [unrolled: 1-line block ×3, first 2 shown]
	v_mul_f32_e32 v57, 0xbf7ee86f, v143
	v_fmamk_f32 v60, v58, 0x3f3d2fb0, v63
	v_fmac_f32_e32 v119, 0x3f3d2fb0, v144
	v_fma_f32 v63, 0x3f3d2fb0, v58, -v63
	v_add_nc_u32_e32 v32, v32, v35
	v_fma_f32 v106, 0x3dbcf732, v144, -v57
	v_dual_add_f32 v60, v60, v105 :: v_dual_mul_f32 v105, 0xbf7ee86f, v104
	v_dual_add_f32 v107, v119, v108 :: v_dual_mul_f32 v108, 0xbf4c4adb, v143
	s_delay_alu instid0(VALU_DEP_3) | instskip(NEXT) | instid1(VALU_DEP_3)
	v_dual_add_f32 v63, v63, v110 :: v_dual_add_f32 v106, v106, v112
	v_fmamk_f32 v110, v58, 0x3dbcf732, v105
	v_fmac_f32_e32 v57, 0x3dbcf732, v144
	v_mul_f32_e32 v112, 0xbf4c4adb, v104
	v_fma_f32 v119, 0xbf1a4643, v144, -v108
	v_fmac_f32_e32 v108, 0xbf1a4643, v144
	v_fma_f32 v105, 0x3dbcf732, v58, -v105
	v_add_f32_e32 v110, v110, v113
	v_add_f32_e32 v57, v57, v109
	v_fmamk_f32 v109, v58, 0xbf1a4643, v112
	v_dual_mul_f32 v113, 0xbe3c28d5, v143 :: v_dual_add_f32 v108, v108, v114
	v_mul_f32_e32 v114, 0x3f06c442, v143
	v_add_f32_e32 v105, v105, v111
	v_add_f32_e32 v111, v119, v115
	v_fma_f32 v112, 0xbf1a4643, v58, -v112
	v_add_f32_e32 v109, v109, v121
	v_mul_f32_e32 v115, 0xbe3c28d5, v104
	v_fma_f32 v119, 0xbf7ba420, v144, -v113
	v_fmac_f32_e32 v113, 0xbf7ba420, v144
	v_fma_f32 v121, 0xbf59a7d5, v144, -v114
	v_add_f32_e32 v112, v112, v116
	v_fmamk_f32 v116, v58, 0xbf7ba420, v115
	s_delay_alu instid0(VALU_DEP_4) | instskip(NEXT) | instid1(VALU_DEP_4)
	v_dual_fmac_f32 v114, 0xbf59a7d5, v144 :: v_dual_add_f32 v113, v113, v117
	v_add_f32_e32 v117, v121, v131
	s_delay_alu instid0(VALU_DEP_3) | instskip(SKIP_1) | instid1(VALU_DEP_4)
	v_dual_mul_f32 v121, 0x3f763a35, v143 :: v_dual_add_f32 v116, v116, v128
	v_mul_f32_e32 v128, 0x3f763a35, v104
	v_add_f32_e32 v114, v114, v129
	v_fma_f32 v115, 0xbf7ba420, v58, -v115
	s_delay_alu instid0(VALU_DEP_4) | instskip(SKIP_4) | instid1(VALU_DEP_4)
	v_fma_f32 v131, 0xbe8c1d8e, v144, -v121
	v_fmac_f32_e32 v121, 0xbe8c1d8e, v144
	v_fmamk_f32 v129, v58, 0xbe8c1d8e, v128
	v_fma_f32 v128, 0xbe8c1d8e, v58, -v128
	v_add_f32_e32 v115, v115, v126
	v_add_f32_e32 v121, v121, v133
	v_mul_f32_e32 v133, 0x3eb8f4ab, v143
	s_delay_alu instid0(VALU_DEP_4) | instskip(NEXT) | instid1(VALU_DEP_2)
	v_dual_add_f32 v129, v129, v137 :: v_dual_add_f32 v128, v128, v135
	v_fma_f32 v137, 0x3f6eb680, v144, -v133
	v_fmac_f32_e32 v133, 0x3f6eb680, v144
	s_delay_alu instid0(VALU_DEP_1) | instskip(SKIP_1) | instid1(VALU_DEP_1)
	v_add_f32_e32 v55, v133, v55
	v_dual_add_f32 v119, v119, v122 :: v_dual_mul_f32 v122, 0x3f06c442, v104
	v_fmamk_f32 v126, v58, 0xbf59a7d5, v122
	v_fma_f32 v122, 0xbf59a7d5, v58, -v122
	s_delay_alu instid0(VALU_DEP_2) | instskip(NEXT) | instid1(VALU_DEP_2)
	v_add_f32_e32 v126, v126, v132
	v_add_f32_e32 v122, v122, v130
	v_dual_add_f32 v130, v131, v134 :: v_dual_mul_f32 v131, 0x3f65296c, v143
	v_mul_f32_e32 v132, 0x3f65296c, v104
	v_mul_f32_e32 v104, 0x3eb8f4ab, v104
	s_delay_alu instid0(VALU_DEP_3) | instskip(NEXT) | instid1(VALU_DEP_3)
	v_fma_f32 v134, 0x3ee437d1, v144, -v131
	v_fmamk_f32 v135, v58, 0x3ee437d1, v132
	v_fmac_f32_e32 v131, 0x3ee437d1, v144
	v_fma_f32 v132, 0x3ee437d1, v58, -v132
	s_delay_alu instid0(VALU_DEP_4) | instskip(NEXT) | instid1(VALU_DEP_3)
	v_add_f32_e32 v134, v134, v138
	v_dual_fmamk_f32 v138, v58, 0x3f6eb680, v104 :: v_dual_add_f32 v131, v131, v136
	s_delay_alu instid0(VALU_DEP_3) | instskip(SKIP_4) | instid1(VALU_DEP_4)
	v_add_f32_e32 v132, v132, v139
	v_dual_add_f32 v136, v137, v141 :: v_dual_sub_f32 v137, v118, v103
	v_sub_f32_e32 v139, v120, v102
	v_add_f32_e32 v102, v120, v102
	v_fma_f32 v58, 0x3f6eb680, v58, -v104
	v_dual_add_f32 v103, v118, v103 :: v_dual_mul_f32 v120, 0xbf65296c, v137
	s_delay_alu instid0(VALU_DEP_4) | instskip(SKIP_1) | instid1(VALU_DEP_4)
	v_mul_f32_e32 v104, 0xbf65296c, v139
	v_add_f32_e32 v118, v138, v142
	v_dual_add_f32 v56, v58, v56 :: v_dual_mul_f32 v133, 0xbf4c4adb, v137
	s_delay_alu instid0(VALU_DEP_4) | instskip(NEXT) | instid1(VALU_DEP_4)
	v_fma_f32 v138, 0x3ee437d1, v102, -v120
	v_fmamk_f32 v58, v103, 0x3ee437d1, v104
	v_fma_f32 v104, 0x3ee437d1, v103, -v104
	v_dual_fmac_f32 v120, 0x3ee437d1, v102 :: v_dual_add_f32 v135, v135, v140
	s_delay_alu instid0(VALU_DEP_4) | instskip(NEXT) | instid1(VALU_DEP_4)
	v_add_f32_e32 v59, v138, v59
	v_add_f32_e32 v58, v58, v60
	v_fma_f32 v60, 0xbf1a4643, v102, -v133
	v_mul_f32_e32 v138, 0xbf4c4adb, v139
	v_dual_add_f32 v63, v104, v63 :: v_dual_mul_f32 v104, 0x3e3c28d5, v137
	v_add_f32_e32 v107, v120, v107
	s_delay_alu instid0(VALU_DEP_4) | instskip(NEXT) | instid1(VALU_DEP_4)
	v_add_f32_e32 v60, v60, v106
	v_fmamk_f32 v106, v103, 0xbf1a4643, v138
	v_fma_f32 v120, 0xbf1a4643, v103, -v138
	v_fma_f32 v138, 0xbf7ba420, v102, -v104
	v_mul_f32_e32 v140, 0x3e3c28d5, v139
	v_fmac_f32_e32 v133, 0xbf1a4643, v102
	s_delay_alu instid0(VALU_DEP_4) | instskip(NEXT) | instid1(VALU_DEP_3)
	v_dual_add_f32 v106, v106, v110 :: v_dual_add_f32 v105, v120, v105
	v_dual_add_f32 v110, v138, v111 :: v_dual_fmamk_f32 v111, v103, 0xbf7ba420, v140
	v_mul_f32_e32 v120, 0x3f763a35, v137
	s_delay_alu instid0(VALU_DEP_4) | instskip(SKIP_1) | instid1(VALU_DEP_4)
	v_dual_add_f32 v57, v133, v57 :: v_dual_fmac_f32 v104, 0xbf7ba420, v102
	v_fma_f32 v133, 0xbf7ba420, v103, -v140
	v_dual_mul_f32 v138, 0x3f763a35, v139 :: v_dual_add_f32 v109, v111, v109
	s_delay_alu instid0(VALU_DEP_4) | instskip(NEXT) | instid1(VALU_DEP_4)
	v_fma_f32 v111, 0xbe8c1d8e, v102, -v120
	v_add_f32_e32 v104, v104, v108
	s_delay_alu instid0(VALU_DEP_4) | instskip(NEXT) | instid1(VALU_DEP_4)
	v_add_f32_e32 v108, v133, v112
	v_fmamk_f32 v112, v103, 0xbe8c1d8e, v138
	v_mul_f32_e32 v133, 0x3f2c7751, v137
	v_add_f32_e32 v111, v111, v119
	v_fma_f32 v119, 0xbe8c1d8e, v103, -v138
	v_fmac_f32_e32 v120, 0xbe8c1d8e, v102
	v_add_f32_e32 v112, v112, v116
	v_fma_f32 v116, 0x3f3d2fb0, v102, -v133
	v_mul_f32_e32 v138, 0x3f2c7751, v139
	v_add_f32_e32 v115, v119, v115
	v_mul_f32_e32 v119, 0xbeb8f4ab, v137
	v_add_f32_e32 v113, v120, v113
	s_delay_alu instid0(VALU_DEP_4) | instskip(SKIP_1) | instid1(VALU_DEP_4)
	v_dual_add_f32 v116, v116, v117 :: v_dual_fmamk_f32 v117, v103, 0x3f3d2fb0, v138
	v_fma_f32 v120, 0x3f3d2fb0, v103, -v138
	v_fma_f32 v138, 0x3f6eb680, v102, -v119
	v_mul_f32_e32 v140, 0xbeb8f4ab, v139
	v_fmac_f32_e32 v133, 0x3f3d2fb0, v102
	v_add_f32_e32 v117, v117, v126
	v_add_f32_e32 v120, v120, v122
	;; [unrolled: 1-line block ×3, first 2 shown]
	v_fmamk_f32 v126, v103, 0x3f6eb680, v140
	v_mul_f32_e32 v130, 0xbf7ee86f, v137
	v_add_f32_e32 v114, v133, v114
	v_fmac_f32_e32 v119, 0x3f6eb680, v102
	s_delay_alu instid0(VALU_DEP_4) | instskip(NEXT) | instid1(VALU_DEP_4)
	v_dual_mul_f32 v133, 0xbf7ee86f, v139 :: v_dual_add_f32 v126, v126, v129
	v_fma_f32 v129, 0x3dbcf732, v102, -v130
	v_mul_f32_e32 v137, 0xbf06c442, v137
	v_fmac_f32_e32 v130, 0x3dbcf732, v102
	v_fma_f32 v138, 0x3f6eb680, v103, -v140
	v_add_f32_e32 v119, v119, v121
	v_fmamk_f32 v121, v103, 0x3dbcf732, v133
	v_add_f32_e32 v129, v129, v134
	v_fma_f32 v133, 0x3dbcf732, v103, -v133
	v_fma_f32 v134, 0xbf59a7d5, v102, -v137
	v_dual_add_f32 v130, v130, v131 :: v_dual_sub_f32 v131, v53, v62
	v_dual_add_f32 v128, v138, v128 :: v_dual_add_f32 v121, v121, v135
	s_delay_alu instid0(VALU_DEP_4) | instskip(NEXT) | instid1(VALU_DEP_4)
	v_dual_mul_f32 v135, 0xbf06c442, v139 :: v_dual_add_f32 v132, v133, v132
	v_add_f32_e32 v133, v134, v136
	v_add_f32_e32 v136, v54, v61
	v_mul_f32_e32 v138, 0xbf7ee86f, v131
	v_sub_f32_e32 v54, v54, v61
	v_fmamk_f32 v134, v103, 0xbf59a7d5, v135
	v_fmac_f32_e32 v137, 0xbf59a7d5, v102
	v_fma_f32 v61, 0xbf59a7d5, v103, -v135
	v_add_f32_e32 v53, v53, v62
	v_fma_f32 v62, 0x3dbcf732, v136, -v138
	v_mul_f32_e32 v102, 0xbf7ee86f, v54
	s_delay_alu instid0(VALU_DEP_4) | instskip(NEXT) | instid1(VALU_DEP_3)
	v_dual_add_f32 v103, v134, v118 :: v_dual_add_f32 v56, v61, v56
	v_dual_mul_f32 v118, 0xbe3c28d5, v54 :: v_dual_add_f32 v59, v62, v59
	s_delay_alu instid0(VALU_DEP_3)
	v_fmamk_f32 v61, v53, 0x3dbcf732, v102
	v_mul_f32_e32 v62, 0xbe3c28d5, v131
	v_fma_f32 v102, 0x3dbcf732, v53, -v102
	v_mul_f32_e32 v134, 0x3f763a35, v131
	v_mul_f32_e32 v135, 0x3eb8f4ab, v54
	v_add_f32_e32 v58, v61, v58
	v_fma_f32 v61, 0xbf7ba420, v136, -v62
	v_dual_add_f32 v63, v102, v63 :: v_dual_fmamk_f32 v102, v53, 0xbf7ba420, v118
	v_dual_fmac_f32 v62, 0xbf7ba420, v136 :: v_dual_add_f32 v55, v137, v55
	s_delay_alu instid0(VALU_DEP_3) | instskip(SKIP_1) | instid1(VALU_DEP_4)
	v_add_f32_e32 v60, v61, v60
	v_fma_f32 v61, 0xbf7ba420, v53, -v118
	v_add_f32_e32 v102, v102, v106
	v_fma_f32 v106, 0xbe8c1d8e, v136, -v134
	v_dual_mul_f32 v118, 0x3f763a35, v54 :: v_dual_add_f32 v57, v62, v57
	s_delay_alu instid0(VALU_DEP_4) | instskip(NEXT) | instid1(VALU_DEP_2)
	v_dual_mul_f32 v62, 0x3eb8f4ab, v131 :: v_dual_add_f32 v61, v61, v105
	v_dual_add_f32 v105, v106, v110 :: v_dual_fmamk_f32 v106, v53, 0xbe8c1d8e, v118
	v_fma_f32 v110, 0xbe8c1d8e, v53, -v118
	s_delay_alu instid0(VALU_DEP_3)
	v_fma_f32 v118, 0x3f6eb680, v136, -v62
	v_fmac_f32_e32 v134, 0xbe8c1d8e, v136
	v_fmac_f32_e32 v62, 0x3f6eb680, v136
	v_add_f32_e32 v106, v106, v109
	v_add_f32_e32 v108, v110, v108
	v_dual_add_f32 v109, v118, v111 :: v_dual_fmamk_f32 v110, v53, 0x3f6eb680, v135
	v_dual_mul_f32 v111, 0xbf65296c, v131 :: v_dual_add_f32 v104, v134, v104
	v_fma_f32 v118, 0x3f6eb680, v53, -v135
	v_mul_f32_e32 v134, 0xbf65296c, v54
	s_delay_alu instid0(VALU_DEP_4) | instskip(NEXT) | instid1(VALU_DEP_4)
	v_add_f32_e32 v110, v110, v112
	v_fma_f32 v112, 0x3ee437d1, v136, -v111
	v_add_f32_e32 v62, v62, v113
	v_add_f32_e32 v113, v118, v115
	v_fmamk_f32 v115, v53, 0x3ee437d1, v134
	v_mul_f32_e32 v118, 0xbf06c442, v131
	v_add_f32_e32 v112, v112, v116
	v_fmac_f32_e32 v111, 0x3ee437d1, v136
	v_fma_f32 v116, 0x3ee437d1, v53, -v134
	v_add_f32_e32 v115, v115, v117
	v_fma_f32 v117, 0xbf59a7d5, v136, -v118
	v_mul_f32_e32 v134, 0xbf06c442, v54
	s_delay_alu instid0(VALU_DEP_4) | instskip(NEXT) | instid1(VALU_DEP_3)
	v_dual_add_f32 v111, v111, v114 :: v_dual_add_f32 v114, v116, v120
	v_dual_mul_f32 v116, 0x3f4c4adb, v131 :: v_dual_add_f32 v117, v117, v122
	s_delay_alu instid0(VALU_DEP_3) | instskip(SKIP_2) | instid1(VALU_DEP_4)
	v_fmamk_f32 v120, v53, 0xbf59a7d5, v134
	v_fmac_f32_e32 v118, 0xbf59a7d5, v136
	v_fma_f32 v122, 0xbf59a7d5, v53, -v134
	v_fma_f32 v134, 0xbf1a4643, v136, -v116
	v_mul_f32_e32 v135, 0x3f4c4adb, v54
	v_mul_f32_e32 v54, 0x3f2c7751, v54
	v_fmac_f32_e32 v116, 0xbf1a4643, v136
	v_add_f32_e32 v118, v118, v119
	v_dual_add_f32 v119, v122, v128 :: v_dual_mul_f32 v128, 0x3f2c7751, v131
	s_delay_alu instid0(VALU_DEP_3)
	v_dual_fmamk_f32 v131, v53, 0x3f3d2fb0, v54 :: v_dual_add_f32 v116, v116, v130
	v_sub_f32_e32 v130, v49, v51
	v_add_f32_e32 v120, v120, v126
	v_add_f32_e32 v122, v134, v129
	v_fmamk_f32 v126, v53, 0xbf1a4643, v135
	v_fma_f32 v129, 0xbf1a4643, v53, -v135
	v_add_f32_e32 v103, v131, v103
	v_add_f32_e32 v131, v50, v52
	v_sub_f32_e32 v50, v50, v52
	v_mul_f32_e32 v52, 0xbf763a35, v130
	v_fma_f32 v53, 0x3f3d2fb0, v53, -v54
	v_add_f32_e32 v121, v126, v121
	v_fma_f32 v126, 0x3f3d2fb0, v136, -v128
	v_dual_fmac_f32 v128, 0x3f3d2fb0, v136 :: v_dual_add_f32 v49, v49, v51
	v_mul_f32_e32 v51, 0xbf763a35, v50
	v_fma_f32 v54, 0xbe8c1d8e, v131, -v52
	v_dual_add_f32 v53, v53, v56 :: v_dual_mul_f32 v56, 0x3f06c442, v130
	s_delay_alu instid0(VALU_DEP_3) | instskip(NEXT) | instid1(VALU_DEP_3)
	v_dual_add_f32 v55, v128, v55 :: v_dual_fmamk_f32 v128, v49, 0xbe8c1d8e, v51
	v_add_f32_e32 v54, v54, v59
	v_fma_f32 v51, 0xbe8c1d8e, v49, -v51
	s_delay_alu instid0(VALU_DEP_4) | instskip(NEXT) | instid1(VALU_DEP_4)
	v_fma_f32 v59, 0xbf59a7d5, v131, -v56
	v_dual_add_f32 v129, v129, v132 :: v_dual_add_f32 v58, v128, v58
	s_delay_alu instid0(VALU_DEP_3) | instskip(NEXT) | instid1(VALU_DEP_3)
	v_dual_mul_f32 v128, 0x3f06c442, v50 :: v_dual_add_f32 v51, v51, v63
	v_dual_add_f32 v59, v59, v60 :: v_dual_mul_f32 v60, 0x3f2c7751, v130
	v_fmac_f32_e32 v52, 0xbe8c1d8e, v131
	s_delay_alu instid0(VALU_DEP_3) | instskip(SKIP_3) | instid1(VALU_DEP_4)
	v_fmamk_f32 v63, v49, 0xbf59a7d5, v128
	v_fmac_f32_e32 v56, 0xbf59a7d5, v131
	v_add_f32_e32 v126, v126, v133
	v_fma_f32 v132, 0x3f3d2fb0, v131, -v60
	v_dual_fmac_f32 v60, 0x3f3d2fb0, v131 :: v_dual_add_f32 v63, v63, v102
	s_delay_alu instid0(VALU_DEP_4) | instskip(NEXT) | instid1(VALU_DEP_3)
	v_add_f32_e32 v56, v56, v57
	v_add_f32_e32 v102, v132, v105
	v_fmac_f32_e32 v138, 0x3dbcf732, v136
	s_delay_alu instid0(VALU_DEP_4) | instskip(NEXT) | instid1(VALU_DEP_2)
	v_dual_mul_f32 v105, 0xbf65296c, v130 :: v_dual_add_f32 v60, v60, v104
	v_add_f32_e32 v107, v138, v107
	s_delay_alu instid0(VALU_DEP_1) | instskip(SKIP_1) | instid1(VALU_DEP_1)
	v_add_f32_e32 v52, v52, v107
	v_fma_f32 v107, 0xbf59a7d5, v49, -v128
	v_dual_mul_f32 v128, 0x3f2c7751, v50 :: v_dual_add_f32 v57, v107, v61
	s_delay_alu instid0(VALU_DEP_1) | instskip(SKIP_3) | instid1(VALU_DEP_4)
	v_fmamk_f32 v61, v49, 0x3f3d2fb0, v128
	v_fma_f32 v107, 0x3f3d2fb0, v49, -v128
	v_fma_f32 v128, 0x3ee437d1, v131, -v105
	v_fmac_f32_e32 v105, 0x3ee437d1, v131
	v_add_f32_e32 v61, v61, v106
	v_mul_f32_e32 v106, 0xbf65296c, v50
	v_dual_add_f32 v104, v107, v108 :: v_dual_mul_f32 v107, 0xbe3c28d5, v130
	s_delay_alu instid0(VALU_DEP_4) | instskip(NEXT) | instid1(VALU_DEP_3)
	v_dual_add_f32 v109, v128, v109 :: v_dual_add_f32 v62, v105, v62
	v_fmamk_f32 v108, v49, 0x3ee437d1, v106
	v_fma_f32 v106, 0x3ee437d1, v49, -v106
	s_delay_alu instid0(VALU_DEP_4) | instskip(NEXT) | instid1(VALU_DEP_3)
	v_fma_f32 v128, 0xbf7ba420, v131, -v107
	v_dual_fmac_f32 v107, 0xbf7ba420, v131 :: v_dual_add_f32 v108, v108, v110
	s_delay_alu instid0(VALU_DEP_3) | instskip(NEXT) | instid1(VALU_DEP_3)
	v_dual_mul_f32 v110, 0xbe3c28d5, v50 :: v_dual_add_f32 v105, v106, v113
	v_add_f32_e32 v106, v128, v112
	v_mul_f32_e32 v112, 0x3f7ee86f, v130
	v_mul_f32_e32 v128, 0x3f7ee86f, v50
	s_delay_alu instid0(VALU_DEP_4)
	v_fmamk_f32 v113, v49, 0xbf7ba420, v110
	v_fma_f32 v110, 0xbf7ba420, v49, -v110
	v_add_f32_e32 v107, v107, v111
	v_fma_f32 v132, 0x3dbcf732, v131, -v112
	v_fmamk_f32 v111, v49, 0x3dbcf732, v128
	v_add_f32_e32 v113, v113, v115
	v_mul_f32_e32 v115, 0xbeb8f4ab, v130
	v_fmac_f32_e32 v112, 0x3dbcf732, v131
	v_add_f32_e32 v110, v110, v114
	v_add_f32_e32 v114, v132, v117
	v_fma_f32 v117, 0x3dbcf732, v49, -v128
	v_dual_add_f32 v111, v111, v120 :: v_dual_mul_f32 v120, 0xbeb8f4ab, v50
	v_fma_f32 v128, 0x3f6eb680, v131, -v115
	v_add_f32_e32 v112, v112, v118
	s_delay_alu instid0(VALU_DEP_4) | instskip(NEXT) | instid1(VALU_DEP_3)
	v_dual_mul_f32 v118, 0xbf4c4adb, v130 :: v_dual_add_f32 v117, v117, v119
	v_dual_fmamk_f32 v119, v49, 0x3f6eb680, v120 :: v_dual_add_f32 v122, v128, v122
	v_fmac_f32_e32 v115, 0x3f6eb680, v131
	v_fma_f32 v120, 0x3f6eb680, v49, -v120
	s_delay_alu instid0(VALU_DEP_4) | instskip(NEXT) | instid1(VALU_DEP_4)
	v_fma_f32 v128, 0xbf1a4643, v131, -v118
	v_dual_add_f32 v119, v119, v121 :: v_dual_mul_f32 v50, 0xbf4c4adb, v50
	s_delay_alu instid0(VALU_DEP_3) | instskip(NEXT) | instid1(VALU_DEP_3)
	v_dual_add_f32 v115, v115, v116 :: v_dual_add_f32 v116, v120, v129
	v_dual_add_f32 v120, v128, v126 :: v_dual_sub_f32 v121, v45, v47
	v_sub_f32_e32 v128, v46, v48
	s_delay_alu instid0(VALU_DEP_4)
	v_fmamk_f32 v126, v49, 0xbf1a4643, v50
	v_fmac_f32_e32 v118, 0xbf1a4643, v131
	v_add_f32_e32 v46, v46, v48
	v_mul_f32_e32 v48, 0xbf4c4adb, v121
	v_fma_f32 v49, 0xbf1a4643, v49, -v50
	v_add_f32_e32 v45, v45, v47
	v_dual_mul_f32 v47, 0xbf4c4adb, v128 :: v_dual_add_f32 v50, v126, v103
	s_delay_alu instid0(VALU_DEP_4) | instskip(SKIP_2) | instid1(VALU_DEP_4)
	v_fma_f32 v103, 0xbf1a4643, v46, -v48
	v_add_f32_e32 v55, v118, v55
	v_add_f32_e32 v49, v49, v53
	v_fmamk_f32 v53, v45, 0xbf1a4643, v47
	v_mul_f32_e32 v118, 0x3f763a35, v121
	v_fma_f32 v47, 0xbf1a4643, v45, -v47
	v_add_f32_e32 v54, v103, v54
	v_fmac_f32_e32 v48, 0xbf1a4643, v46
	v_add_f32_e32 v53, v53, v58
	v_fma_f32 v58, 0xbe8c1d8e, v46, -v118
	v_mul_f32_e32 v103, 0x3f763a35, v128
	v_add_f32_e32 v47, v47, v51
	v_dual_mul_f32 v51, 0xbeb8f4ab, v121 :: v_dual_add_f32 v48, v48, v52
	s_delay_alu instid0(VALU_DEP_4) | instskip(NEXT) | instid1(VALU_DEP_4)
	v_add_f32_e32 v52, v58, v59
	v_fmamk_f32 v58, v45, 0xbe8c1d8e, v103
	v_fma_f32 v59, 0xbe8c1d8e, v45, -v103
	s_delay_alu instid0(VALU_DEP_4) | instskip(SKIP_2) | instid1(VALU_DEP_4)
	v_fma_f32 v103, 0x3f6eb680, v46, -v51
	v_mul_f32_e32 v126, 0xbeb8f4ab, v128
	v_fmac_f32_e32 v118, 0xbe8c1d8e, v46
	v_dual_add_f32 v58, v58, v63 :: v_dual_add_f32 v57, v59, v57
	s_delay_alu instid0(VALU_DEP_4) | instskip(NEXT) | instid1(VALU_DEP_4)
	v_add_f32_e32 v59, v103, v102
	v_fmamk_f32 v63, v45, 0x3f6eb680, v126
	v_mul_f32_e32 v102, 0xbf06c442, v121
	v_dual_add_f32 v56, v118, v56 :: v_dual_fmac_f32 v51, 0x3f6eb680, v46
	v_fma_f32 v103, 0x3f6eb680, v45, -v126
	s_delay_alu instid0(VALU_DEP_4) | instskip(NEXT) | instid1(VALU_DEP_4)
	v_dual_mul_f32 v118, 0xbf06c442, v128 :: v_dual_add_f32 v61, v63, v61
	v_fma_f32 v63, 0xbf59a7d5, v46, -v102
	s_delay_alu instid0(VALU_DEP_4) | instskip(NEXT) | instid1(VALU_DEP_3)
	v_add_f32_e32 v51, v51, v60
	v_dual_add_f32 v60, v103, v104 :: v_dual_fmamk_f32 v103, v45, 0xbf59a7d5, v118
	v_mul_f32_e32 v104, 0x3f7ee86f, v121
	s_delay_alu instid0(VALU_DEP_4) | instskip(SKIP_1) | instid1(VALU_DEP_4)
	v_dual_add_f32 v63, v63, v109 :: v_dual_fmac_f32 v102, 0xbf59a7d5, v46
	v_fma_f32 v109, 0xbf59a7d5, v45, -v118
	v_add_f32_e32 v103, v103, v108
	s_delay_alu instid0(VALU_DEP_4) | instskip(SKIP_3) | instid1(VALU_DEP_4)
	v_fma_f32 v108, 0x3dbcf732, v46, -v104
	v_mul_f32_e32 v118, 0x3f7ee86f, v128
	v_dual_add_f32 v62, v102, v62 :: v_dual_add_nc_u32 v129, 0xc00, v124
	v_add_f32_e32 v102, v109, v105
	v_dual_mul_f32 v105, 0xbf2c7751, v121 :: v_dual_add_f32 v106, v108, v106
	s_delay_alu instid0(VALU_DEP_4) | instskip(SKIP_2) | instid1(VALU_DEP_4)
	v_fmamk_f32 v108, v45, 0x3dbcf732, v118
	v_fmac_f32_e32 v104, 0x3dbcf732, v46
	v_fma_f32 v109, 0x3dbcf732, v45, -v118
	v_fma_f32 v118, 0x3f3d2fb0, v46, -v105
	v_mul_f32_e32 v126, 0xbf2c7751, v128
	v_add_f32_e32 v108, v108, v113
	s_delay_alu instid0(VALU_DEP_4) | instskip(NEXT) | instid1(VALU_DEP_3)
	v_dual_add_f32 v104, v104, v107 :: v_dual_add_f32 v107, v109, v110
	v_dual_add_f32 v109, v118, v114 :: v_dual_fmamk_f32 v110, v45, 0x3f3d2fb0, v126
	v_mul_f32_e32 v113, 0xbe3c28d5, v121
	v_fmac_f32_e32 v105, 0x3f3d2fb0, v46
	v_mul_f32_e32 v114, 0xbe3c28d5, v128
	v_fma_f32 v118, 0x3f3d2fb0, v45, -v126
	v_add_f32_e32 v110, v110, v111
	v_fma_f32 v111, 0xbf7ba420, v46, -v113
	v_add_f32_e32 v105, v105, v112
	s_delay_alu instid0(VALU_DEP_4) | instskip(SKIP_3) | instid1(VALU_DEP_4)
	v_dual_fmamk_f32 v112, v45, 0xbf7ba420, v114 :: v_dual_add_f32 v117, v118, v117
	v_mul_f32_e32 v118, 0x3f65296c, v121
	v_fmac_f32_e32 v113, 0xbf7ba420, v46
	v_fma_f32 v114, 0xbf7ba420, v45, -v114
	v_dual_add_f32 v112, v112, v119 :: v_dual_add_f32 v111, v111, v122
	s_delay_alu instid0(VALU_DEP_4) | instskip(NEXT) | instid1(VALU_DEP_4)
	v_fma_f32 v119, 0x3ee437d1, v46, -v118
	v_add_f32_e32 v113, v113, v115
	v_sub_f32_e32 v115, v41, v43
	v_mul_f32_e32 v121, 0x3f65296c, v128
	v_add_f32_e32 v114, v114, v116
	v_add_f32_e32 v116, v119, v120
	;; [unrolled: 1-line block ×3, first 2 shown]
	v_mul_f32_e32 v122, 0xbf06c442, v115
	v_dual_sub_f32 v42, v42, v44 :: v_dual_fmamk_f32 v119, v45, 0x3ee437d1, v121
	v_fmac_f32_e32 v118, 0x3ee437d1, v46
	v_fma_f32 v44, 0x3ee437d1, v45, -v121
	v_add_f32_e32 v41, v41, v43
	v_fma_f32 v43, 0xbf59a7d5, v120, -v122
	v_mul_f32_e32 v45, 0xbf06c442, v42
	v_add_f32_e32 v46, v119, v50
	v_add_f32_e32 v50, v118, v55
	s_delay_alu instid0(VALU_DEP_4) | instskip(NEXT) | instid1(VALU_DEP_4)
	v_dual_add_f32 v44, v44, v49 :: v_dual_add_f32 v43, v43, v54
	v_fmamk_f32 v49, v41, 0xbf59a7d5, v45
	v_mul_f32_e32 v54, 0x3f65296c, v115
	v_fma_f32 v45, 0xbf59a7d5, v41, -v45
	v_mul_f32_e32 v55, 0x3f65296c, v42
	s_delay_alu instid0(VALU_DEP_4) | instskip(NEXT) | instid1(VALU_DEP_4)
	v_dual_mul_f32 v118, 0xbf7ee86f, v115 :: v_dual_add_f32 v49, v49, v53
	v_fma_f32 v53, 0x3ee437d1, v120, -v54
	s_delay_alu instid0(VALU_DEP_4) | instskip(NEXT) | instid1(VALU_DEP_4)
	v_add_f32_e32 v45, v45, v47
	v_dual_fmamk_f32 v47, v41, 0x3ee437d1, v55 :: v_dual_fmac_f32 v54, 0x3ee437d1, v120
	s_delay_alu instid0(VALU_DEP_3) | instskip(SKIP_1) | instid1(VALU_DEP_3)
	v_dual_mul_f32 v119, 0x3f4c4adb, v42 :: v_dual_add_f32 v52, v53, v52
	v_fma_f32 v53, 0x3ee437d1, v41, -v55
	v_add_f32_e32 v47, v47, v58
	v_mul_f32_e32 v58, 0xbf7ee86f, v42
	v_fma_f32 v55, 0x3dbcf732, v120, -v118
	s_delay_alu instid0(VALU_DEP_4) | instskip(SKIP_1) | instid1(VALU_DEP_4)
	v_dual_add_f32 v54, v54, v56 :: v_dual_add_f32 v53, v53, v57
	v_mul_f32_e32 v56, 0x3f4c4adb, v115
	v_fmamk_f32 v57, v41, 0x3dbcf732, v58
	v_fma_f32 v58, 0x3dbcf732, v41, -v58
	v_dual_add_f32 v55, v55, v59 :: v_dual_fmac_f32 v118, 0x3dbcf732, v120
	s_delay_alu instid0(VALU_DEP_4) | instskip(NEXT) | instid1(VALU_DEP_3)
	v_fma_f32 v59, 0xbf1a4643, v120, -v56
	v_dual_add_f32 v57, v57, v61 :: v_dual_add_f32 v58, v58, v60
	v_fmamk_f32 v60, v41, 0xbf1a4643, v119
	v_mul_f32_e32 v61, 0xbeb8f4ab, v115
	v_add_f32_e32 v51, v118, v51
	v_dual_add_f32 v59, v59, v63 :: v_dual_fmac_f32 v56, 0xbf1a4643, v120
	v_fma_f32 v63, 0xbf1a4643, v41, -v119
	v_mul_f32_e32 v118, 0xbeb8f4ab, v42
	v_add_f32_e32 v60, v60, v103
	v_fma_f32 v103, 0x3f6eb680, v120, -v61
	v_add_f32_e32 v56, v56, v62
	s_delay_alu instid0(VALU_DEP_4) | instskip(NEXT) | instid1(VALU_DEP_3)
	v_dual_add_f32 v62, v63, v102 :: v_dual_fmamk_f32 v63, v41, 0x3f6eb680, v118
	v_dual_mul_f32 v102, 0xbe3c28d5, v115 :: v_dual_add_f32 v103, v103, v106
	v_fmac_f32_e32 v61, 0x3f6eb680, v120
	v_fma_f32 v106, 0x3f6eb680, v41, -v118
	s_delay_alu instid0(VALU_DEP_4) | instskip(NEXT) | instid1(VALU_DEP_4)
	v_add_f32_e32 v63, v63, v108
	v_fma_f32 v108, 0xbf7ba420, v120, -v102
	s_delay_alu instid0(VALU_DEP_4) | instskip(NEXT) | instid1(VALU_DEP_4)
	v_dual_mul_f32 v118, 0xbe3c28d5, v42 :: v_dual_add_f32 v61, v61, v104
	v_add_f32_e32 v104, v106, v107
	s_delay_alu instid0(VALU_DEP_3) | instskip(NEXT) | instid1(VALU_DEP_3)
	v_dual_mul_f32 v106, 0x3f2c7751, v115 :: v_dual_add_f32 v107, v108, v109
	v_fmamk_f32 v108, v41, 0xbf7ba420, v118
	v_fmac_f32_e32 v102, 0xbf7ba420, v120
	v_fma_f32 v109, 0xbf7ba420, v41, -v118
	s_delay_alu instid0(VALU_DEP_4) | instskip(SKIP_4) | instid1(VALU_DEP_4)
	v_fma_f32 v118, 0x3f3d2fb0, v120, -v106
	v_mul_f32_e32 v119, 0x3f2c7751, v42
	v_add_f32_e32 v108, v108, v110
	v_add_f32_e32 v102, v102, v105
	;; [unrolled: 1-line block ×3, first 2 shown]
	v_dual_add_f32 v109, v118, v111 :: v_dual_fmamk_f32 v110, v41, 0x3f3d2fb0, v119
	v_mul_f32_e32 v111, 0xbf763a35, v115
	v_fmac_f32_e32 v106, 0x3f3d2fb0, v120
	v_fma_f32 v115, 0x3f3d2fb0, v41, -v119
	v_mul_f32_e32 v42, 0xbf763a35, v42
	v_add_f32_e32 v110, v110, v112
	v_fma_f32 v112, 0xbe8c1d8e, v120, -v111
	s_delay_alu instid0(VALU_DEP_4) | instskip(SKIP_1) | instid1(VALU_DEP_3)
	v_dual_add_f32 v106, v106, v113 :: v_dual_add_f32 v113, v115, v114
	v_dual_sub_f32 v114, v36, v38 :: v_dual_sub_f32 v119, v37, v39
	v_add_f32_e32 v112, v112, v116
	v_add_f32_e32 v116, v37, v39
	v_fmac_f32_e32 v122, 0xbf59a7d5, v120
	s_delay_alu instid0(VALU_DEP_4)
	v_mul_f32_e32 v39, 0xbe3c28d5, v114
	v_fmamk_f32 v117, v41, 0xbe8c1d8e, v42
	v_fmac_f32_e32 v111, 0xbe8c1d8e, v120
	v_fma_f32 v37, 0xbe8c1d8e, v41, -v42
	v_add_f32_e32 v120, v36, v38
	v_mul_f32_e32 v38, 0xbe3c28d5, v119
	v_fma_f32 v36, 0xbf7ba420, v116, -v39
	v_mul_f32_e32 v41, 0x3eb8f4ab, v114
	v_add_f32_e32 v121, v37, v44
	s_delay_alu instid0(VALU_DEP_4) | instskip(NEXT) | instid1(VALU_DEP_4)
	v_dual_add_f32 v48, v122, v48 :: v_dual_fmamk_f32 v37, v120, 0xbf7ba420, v38
	v_add_f32_e32 v36, v36, v43
	v_fma_f32 v38, 0xbf7ba420, v120, -v38
	v_fma_f32 v42, 0x3f6eb680, v116, -v41
	v_mul_f32_e32 v43, 0x3eb8f4ab, v119
	v_fmac_f32_e32 v39, 0xbf7ba420, v116
	v_mul_f32_e32 v44, 0xbf06c442, v119
	v_add_f32_e32 v118, v38, v45
	v_dual_add_f32 v38, v42, v52 :: v_dual_mul_f32 v45, 0xbf06c442, v114
	v_fma_f32 v42, 0x3f6eb680, v120, -v43
	v_add_f32_e32 v115, v117, v46
	v_add_f32_e32 v37, v37, v49
	v_add_f32_e32 v117, v39, v48
	v_fmamk_f32 v39, v120, 0x3f6eb680, v43
	v_fmac_f32_e32 v41, 0x3f6eb680, v116
	v_fma_f32 v43, 0xbf59a7d5, v116, -v45
	v_add_f32_e32 v42, v42, v53
	v_fmamk_f32 v46, v120, 0xbf59a7d5, v44
	v_mul_f32_e32 v49, 0x3f2c7751, v114
	v_fmac_f32_e32 v45, 0xbf59a7d5, v116
	v_mul_f32_e32 v48, 0x3f2c7751, v119
	v_mul_f32_e32 v53, 0xbf4c4adb, v114
	v_add_f32_e32 v111, v111, v50
	v_add_f32_e32 v39, v39, v47
	;; [unrolled: 1-line block ×3, first 2 shown]
	v_fma_f32 v47, 0xbf59a7d5, v120, -v44
	v_add_f32_e32 v44, v46, v57
	v_fma_f32 v50, 0x3f3d2fb0, v116, -v49
	v_add_f32_e32 v45, v45, v51
	v_fmamk_f32 v51, v120, 0x3f3d2fb0, v48
	v_fma_f32 v52, 0xbf1a4643, v116, -v53
	v_mul_f32_e32 v54, 0xbf4c4adb, v119
	v_mul_f32_e32 v57, 0x3f65296c, v114
	v_fmac_f32_e32 v53, 0xbf1a4643, v116
	v_add_f32_e32 v43, v43, v55
	v_dual_add_f32 v46, v47, v58 :: v_dual_add_f32 v47, v50, v59
	v_fmac_f32_e32 v49, 0x3f3d2fb0, v116
	v_fma_f32 v50, 0x3f3d2fb0, v120, -v48
	v_dual_add_f32 v48, v51, v60 :: v_dual_add_f32 v51, v52, v103
	v_fmamk_f32 v52, v120, 0xbf1a4643, v54
	v_fma_f32 v54, 0xbf1a4643, v120, -v54
	v_mul_f32_e32 v58, 0x3f65296c, v119
	v_fma_f32 v55, 0x3ee437d1, v116, -v57
	v_fmac_f32_e32 v57, 0x3ee437d1, v116
	v_dual_mul_f32 v60, 0xbf763a35, v119 :: v_dual_add_f32 v53, v53, v61
	v_mul_f32_e32 v61, 0xbf763a35, v114
	v_dual_add_f32 v49, v49, v56 :: v_dual_add_f32 v50, v50, v62
	v_add_f32_e32 v52, v52, v63
	v_add_f32_e32 v54, v54, v104
	v_fmamk_f32 v56, v120, 0x3ee437d1, v58
	v_fma_f32 v58, 0x3ee437d1, v120, -v58
	v_dual_add_f32 v57, v57, v102 :: v_dual_fmamk_f32 v62, v120, 0xbe8c1d8e, v60
	v_fma_f32 v63, 0xbe8c1d8e, v120, -v60
	v_mul_f32_e32 v104, 0x3f7ee86f, v114
	v_mul_f32_e32 v102, 0x3f7ee86f, v119
	v_fma_f32 v59, 0xbe8c1d8e, v116, -v61
	v_dual_fmac_f32 v61, 0xbe8c1d8e, v116 :: v_dual_add_f32 v58, v58, v105
	v_add_f32_e32 v60, v62, v110
	v_add_f32_e32 v62, v63, v113
	v_fma_f32 v63, 0x3dbcf732, v116, -v104
	v_fmamk_f32 v103, v120, 0x3dbcf732, v102
	v_fmac_f32_e32 v104, 0x3dbcf732, v116
	v_fma_f32 v105, 0x3dbcf732, v120, -v102
	v_lshl_add_u32 v126, v32, 3, v125
	v_dual_add_f32 v55, v55, v107 :: v_dual_add_f32 v56, v56, v108
	v_add_f32_e32 v59, v59, v109
	v_dual_add_f32 v61, v61, v106 :: v_dual_add_f32 v102, v63, v112
	v_add_f32_e32 v103, v103, v115
	v_dual_add_f32 v104, v104, v111 :: v_dual_add_f32 v105, v105, v121
	ds_store_2addr_b64 v126, v[33:34], v[36:37] offset1:17
	ds_store_2addr_b64 v126, v[38:39], v[43:44] offset0:34 offset1:51
	ds_store_2addr_b64 v126, v[47:48], v[51:52] offset0:68 offset1:85
	;; [unrolled: 1-line block ×7, first 2 shown]
	ds_store_b64 v126, v[117:118] offset:2176
	global_wb scope:SCOPE_SE
	s_wait_dscnt 0x0
	s_barrier_signal -1
	s_barrier_wait -1
	global_inv scope:SCOPE_SE
	ds_load_2addr_b64 v[32:35], v124 offset1:34
	ds_load_2addr_b64 v[48:51], v40 offset0:33 offset1:67
	ds_load_2addr_b64 v[36:39], v124 offset0:68 offset1:102
	;; [unrolled: 1-line block ×7, first 2 shown]
	v_add_co_u32 v119, s0, s8, v101
	s_wait_alu 0xf1ff
	v_add_co_ci_u32_e64 v120, null, s9, 0, s0
                                        ; implicit-def: $vgpr121
	s_and_saveexec_b32 s0, vcc_lo
	s_cbranch_execz .LBB0_3
; %bb.2:
	ds_load_b64 v[117:118], v124 offset:2176
	ds_load_b64 v[121:122], v124 offset:4488
	v_add_co_u32 v99, s1, 0x110, v123
	s_wait_alu 0xf1ff
	v_add_co_ci_u32_e64 v100, null, 0, 0, s1
.LBB0_3:
	s_wait_alu 0xfffe
	s_or_b32 exec_lo, exec_lo, s0
	s_delay_alu instid0(VALU_DEP_1)
	v_lshlrev_b64_e32 v[99:100], 3, v[99:100]
	v_lshlrev_b32_e32 v128, 3, v123
	v_lshl_add_u32 v125, v123, 3, v125
	s_clause 0x7
	global_load_b64 v[113:114], v128, s[10:11] offset:2176
	global_load_b64 v[109:110], v128, s[10:11] offset:2448
	;; [unrolled: 1-line block ×8, first 2 shown]
	v_add_co_u32 v99, s0, s10, v99
	s_wait_alu 0xf1ff
	v_add_co_ci_u32_e64 v100, s0, s11, v100, s0
	global_load_b64 v[99:100], v[99:100], off offset:2176
	s_wait_loadcnt_dscnt 0x806
	v_mul_f32_e32 v131, v48, v114
	s_wait_loadcnt_dscnt 0x604
	v_dual_mul_f32 v130, v49, v114 :: v_dual_mul_f32 v135, v60, v116
	s_wait_loadcnt 0x5
	v_dual_mul_f32 v132, v51, v110 :: v_dual_mul_f32 v137, v62, v104
	v_dual_mul_f32 v133, v50, v110 :: v_dual_mul_f32 v134, v61, v116
	s_wait_loadcnt_dscnt 0x402
	v_dual_mul_f32 v136, v63, v104 :: v_dual_mul_f32 v139, v56, v106
	s_wait_loadcnt 0x3
	v_dual_mul_f32 v138, v57, v106 :: v_dual_mul_f32 v141, v58, v112
	s_wait_loadcnt_dscnt 0x200
	v_dual_mul_f32 v140, v59, v112 :: v_dual_mul_f32 v143, v52, v102
	s_wait_loadcnt 0x1
	v_dual_mul_f32 v142, v53, v102 :: v_dual_mul_f32 v145, v54, v108
	v_dual_mul_f32 v144, v55, v108 :: v_dual_fmac_f32 v131, v49, v113
	v_fma_f32 v48, v48, v113, -v130
	v_fma_f32 v50, v50, v109, -v132
	s_wait_loadcnt 0x0
	v_dual_fmac_f32 v133, v51, v109 :: v_dual_mul_f32 v132, v122, v100
	v_fma_f32 v60, v60, v115, -v134
	v_dual_fmac_f32 v137, v63, v103 :: v_dual_mul_f32 v134, v121, v100
	v_dual_fmac_f32 v135, v61, v115 :: v_dual_sub_f32 v48, v32, v48
	v_fma_f32 v61, v62, v103, -v136
	v_fma_f32 v56, v56, v105, -v138
	v_dual_fmac_f32 v139, v57, v105 :: v_dual_sub_f32 v50, v34, v50
	v_fma_f32 v58, v58, v111, -v140
	v_fmac_f32_e32 v141, v59, v111
	v_fma_f32 v62, v52, v101, -v142
	v_dual_sub_f32 v52, v36, v60 :: v_dual_fmac_f32 v143, v53, v101
	v_sub_f32_e32 v56, v44, v56
	v_fma_f32 v130, v54, v107, -v144
	v_dual_fmac_f32 v145, v55, v107 :: v_dual_sub_f32 v54, v38, v61
	v_dual_sub_f32 v49, v33, v131 :: v_dual_sub_f32 v58, v46, v58
	v_dual_sub_f32 v51, v35, v133 :: v_dual_sub_f32 v62, v40, v62
	v_dual_sub_f32 v55, v39, v137 :: v_dual_fmac_f32 v134, v122, v99
	v_fma_f32 v60, v121, v99, -v132
	v_dual_sub_f32 v53, v37, v135 :: v_dual_sub_f32 v130, v42, v130
	v_sub_f32_e32 v57, v45, v139
	s_delay_alu instid0(VALU_DEP_3)
	v_dual_sub_f32 v59, v47, v141 :: v_dual_sub_f32 v60, v117, v60
	v_sub_f32_e32 v63, v41, v143
	v_sub_f32_e32 v131, v43, v145
	v_fma_f32 v32, v32, 2.0, -v48
	v_fma_f32 v33, v33, 2.0, -v49
	;; [unrolled: 1-line block ×4, first 2 shown]
	v_sub_f32_e32 v61, v118, v134
	v_fma_f32 v36, v36, 2.0, -v52
	v_fma_f32 v37, v37, 2.0, -v53
	;; [unrolled: 1-line block ×12, first 2 shown]
	ds_store_b64 v125, v[48:49] offset:2312
	ds_store_2addr_b64 v124, v[32:33], v[34:35] offset1:34
	ds_store_b64 v125, v[50:51] offset:2584
	ds_store_b64 v124, v[36:37] offset:544
	;; [unrolled: 1-line block ×9, first 2 shown]
	ds_store_2addr_b64 v124, v[40:41], v[42:43] offset0:204 offset1:238
	ds_store_2addr_b64 v129, v[62:63], v[130:131] offset0:109 offset1:143
	s_and_saveexec_b32 s0, vcc_lo
	s_cbranch_execz .LBB0_5
; %bb.4:
	v_fma_f32 v33, v118, 2.0, -v61
	v_fma_f32 v32, v117, 2.0, -v60
	ds_store_b64 v124, v[32:33] offset:2176
	ds_store_b64 v125, v[60:61] offset:4488
.LBB0_5:
	s_wait_alu 0xfffe
	s_or_b32 exec_lo, exec_lo, s0
	s_add_nc_u64 s[0:1], s[8:9], 0x1210
	global_wb scope:SCOPE_SE
	s_wait_dscnt 0x0
	s_barrier_signal -1
	s_barrier_wait -1
	global_inv scope:SCOPE_SE
	s_clause 0x10
	global_load_b64 v[62:63], v[119:120], off offset:4624
	global_load_b64 v[129:130], v128, s[0:1] offset:272
	global_load_b64 v[131:132], v128, s[0:1] offset:544
	global_load_b64 v[133:134], v128, s[0:1] offset:816
	global_load_b64 v[135:136], v128, s[0:1] offset:1088
	global_load_b64 v[137:138], v128, s[0:1] offset:1360
	global_load_b64 v[139:140], v128, s[0:1] offset:1632
	global_load_b64 v[141:142], v128, s[0:1] offset:1904
	global_load_b64 v[143:144], v128, s[0:1] offset:2176
	global_load_b64 v[145:146], v128, s[0:1] offset:2448
	global_load_b64 v[147:148], v128, s[0:1] offset:2720
	global_load_b64 v[149:150], v128, s[0:1] offset:2992
	global_load_b64 v[151:152], v128, s[0:1] offset:3264
	global_load_b64 v[153:154], v128, s[0:1] offset:3536
	global_load_b64 v[155:156], v128, s[0:1] offset:3808
	global_load_b64 v[157:158], v128, s[0:1] offset:4080
	global_load_b64 v[159:160], v128, s[0:1] offset:4352
	ds_load_2addr_b64 v[32:35], v124 offset1:34
	ds_load_2addr_b64 v[36:39], v124 offset0:68 offset1:102
	ds_load_2addr_b64 v[40:43], v124 offset0:136 offset1:170
	s_wait_loadcnt_dscnt 0x1002
	v_dual_mul_f32 v128, v33, v63 :: v_dual_add_nc_u32 v117, 0x800, v124
	ds_load_2addr_b64 v[44:47], v124 offset0:204 offset1:238
	ds_load_b64 v[161:162], v124 offset:4352
	ds_load_2addr_b64 v[48:51], v117 offset0:16 offset1:50
	ds_load_2addr_b64 v[52:55], v117 offset0:84 offset1:118
	;; [unrolled: 1-line block ×4, first 2 shown]
	s_wait_loadcnt 0xf
	v_dual_mul_f32 v164, v32, v63 :: v_dual_mul_f32 v165, v35, v130
	s_wait_loadcnt_dscnt 0xe07
	v_dual_mul_f32 v63, v34, v130 :: v_dual_mul_f32 v166, v37, v132
	s_wait_loadcnt 0xd
	v_dual_mul_f32 v130, v36, v132 :: v_dual_mul_f32 v167, v39, v134
	s_delay_alu instid0(VALU_DEP_2)
	v_dual_mul_f32 v132, v38, v134 :: v_dual_fmac_f32 v63, v35, v129
	s_wait_loadcnt_dscnt 0xb06
	v_dual_mul_f32 v168, v41, v136 :: v_dual_mul_f32 v169, v43, v138
	v_mul_f32_e32 v134, v40, v136
	v_mul_f32_e32 v136, v42, v138
	v_fma_f32 v163, v32, v62, -v128
	v_fmac_f32_e32 v164, v33, v62
	s_wait_loadcnt_dscnt 0xa05
	v_mul_f32_e32 v170, v45, v140
	s_wait_loadcnt 0x9
	v_dual_mul_f32 v138, v44, v140 :: v_dual_mul_f32 v171, v47, v142
	s_wait_loadcnt_dscnt 0x502
	v_mul_f32_e32 v175, v55, v150
	v_mul_f32_e32 v140, v46, v142
	s_wait_loadcnt_dscnt 0x301
	v_dual_mul_f32 v172, v49, v144 :: v_dual_mul_f32 v177, v59, v154
	s_wait_loadcnt_dscnt 0x100
	v_dual_mul_f32 v142, v48, v144 :: v_dual_mul_f32 v179, v121, v158
	v_mul_f32_e32 v173, v51, v146
	v_mul_f32_e32 v144, v50, v146
	;; [unrolled: 1-line block ×11, first 2 shown]
	s_wait_loadcnt 0x0
	v_mul_f32_e32 v158, v162, v160
	v_mul_f32_e32 v122, v161, v160
	v_fma_f32 v62, v34, v129, -v165
	v_fma_f32 v129, v36, v131, -v166
	v_fmac_f32_e32 v130, v37, v131
	v_fma_f32 v131, v38, v133, -v167
	v_fmac_f32_e32 v132, v39, v133
	;; [unrolled: 2-line block ×8, first 2 shown]
	v_fmac_f32_e32 v156, v121, v157
	v_fma_f32 v121, v161, v159, -v158
	v_fma_f32 v145, v52, v147, -v174
	v_fmac_f32_e32 v146, v53, v147
	v_fma_f32 v147, v54, v149, -v175
	v_fmac_f32_e32 v148, v55, v149
	;; [unrolled: 2-line block ×6, first 2 shown]
	ds_store_2addr_b64 v124, v[163:164], v[62:63] offset1:34
	ds_store_2addr_b64 v124, v[129:130], v[131:132] offset0:68 offset1:102
	ds_store_2addr_b64 v124, v[133:134], v[135:136] offset0:136 offset1:170
	;; [unrolled: 1-line block ×7, first 2 shown]
	ds_store_b64 v124, v[121:122] offset:4352
	global_wb scope:SCOPE_SE
	s_wait_dscnt 0x0
	s_barrier_signal -1
	s_barrier_wait -1
	global_inv scope:SCOPE_SE
	ds_load_2addr_b64 v[56:59], v124 offset1:34
	ds_load_b64 v[62:63], v124 offset:4352
	ds_load_2addr_b64 v[118:121], v124 offset0:68 offset1:102
	ds_load_2addr_b64 v[52:55], v117 offset0:220 offset1:254
	;; [unrolled: 1-line block ×7, first 2 shown]
	global_wb scope:SCOPE_SE
	s_wait_dscnt 0x0
	s_barrier_signal -1
	s_barrier_wait -1
	global_inv scope:SCOPE_SE
	v_dual_add_f32 v129, v62, v58 :: v_dual_sub_f32 v134, v119, v55
	v_dual_add_f32 v131, v54, v118 :: v_dual_sub_f32 v142, v45, v51
	v_add_f32_e32 v128, v57, v59
	v_add_f32_e32 v130, v63, v59
	v_sub_f32_e32 v59, v59, v63
	s_delay_alu instid0(VALU_DEP_4) | instskip(SKIP_2) | instid1(VALU_DEP_4)
	v_dual_add_f32 v132, v55, v119 :: v_dual_mul_f32 v187, 0x3f763a35, v142
	v_mul_f32_e32 v183, 0xbf7ee86f, v142
	v_add_f32_e32 v119, v128, v119
	v_mul_f32_e32 v147, 0xbf7ee86f, v59
	v_dual_mul_f32 v153, 0xbf06c442, v59 :: v_dual_add_f32 v122, v56, v58
	v_mul_f32_e32 v149, 0xbf763a35, v59
	s_delay_alu instid0(VALU_DEP_4)
	v_add_f32_e32 v119, v119, v121
	v_mul_f32_e32 v151, 0xbf4c4adb, v59
	v_fmamk_f32 v192, v129, 0x3dbcf732, v147
	v_fma_f32 v147, 0x3dbcf732, v129, -v147
	v_fmamk_f32 v198, v129, 0xbf59a7d5, v153
	v_fma_f32 v153, 0xbf59a7d5, v129, -v153
	v_sub_f32_e32 v133, v118, v54
	v_mul_f32_e32 v143, 0xbf2c7751, v59
	v_mul_f32_e32 v145, 0xbf65296c, v59
	;; [unrolled: 1-line block ×3, first 2 shown]
	v_dual_mul_f32 v158, 0x3dbcf732, v132 :: v_dual_add_f32 v147, v56, v147
	v_add_f32_e32 v118, v122, v118
	v_mul_f32_e32 v160, 0xbf1a4643, v132
	v_mul_f32_e32 v164, 0xbf59a7d5, v132
	;; [unrolled: 1-line block ×3, first 2 shown]
	v_fmamk_f32 v194, v129, 0xbe8c1d8e, v149
	v_fma_f32 v149, 0xbe8c1d8e, v129, -v149
	v_mul_f32_e32 v162, 0xbf7ba420, v132
	v_fmamk_f32 v196, v129, 0xbf1a4643, v151
	v_fma_f32 v151, 0xbf1a4643, v129, -v151
	v_mul_f32_e32 v166, 0xbe8c1d8e, v132
	v_dual_mul_f32 v132, 0x3f6eb680, v132 :: v_dual_add_f32 v153, v56, v153
	v_mul_f32_e32 v122, 0xbeb8f4ab, v59
	v_dual_mul_f32 v59, 0xbe3c28d5, v59 :: v_dual_sub_f32 v58, v58, v62
	v_add_f32_e32 v135, v52, v120
	v_sub_f32_e32 v137, v120, v52
	v_mul_f32_e32 v185, 0xbe3c28d5, v142
	v_mul_f32_e32 v128, 0x3f6eb680, v130
	;; [unrolled: 1-line block ×3, first 2 shown]
	v_fmamk_f32 v188, v129, 0x3f3d2fb0, v143
	v_fma_f32 v143, 0x3f3d2fb0, v129, -v143
	v_fmamk_f32 v190, v129, 0x3ee437d1, v145
	v_fma_f32 v145, 0x3ee437d1, v129, -v145
	;; [unrolled: 2-line block ×3, first 2 shown]
	v_dual_fmamk_f32 v203, v133, 0x3f7ee86f, v158 :: v_dual_add_f32 v118, v118, v120
	v_fmamk_f32 v215, v133, 0xbeb8f4ab, v132
	v_fmamk_f32 v120, v129, 0x3f6eb680, v122
	v_fma_f32 v122, 0x3f6eb680, v129, -v122
	v_fmamk_f32 v129, v133, 0x3f2c7751, v156
	v_dual_sub_f32 v138, v121, v53 :: v_dual_fmamk_f32 v191, v58, 0x3f65296c, v146
	v_dual_add_f32 v139, v50, v44 :: v_dual_mul_f32 v144, 0x3f3d2fb0, v130
	v_add_f32_e32 v136, v53, v121
	v_mul_f32_e32 v148, 0x3dbcf732, v130
	s_delay_alu instid0(VALU_DEP_4) | instskip(SKIP_2) | instid1(VALU_DEP_4)
	v_dual_add_f32 v140, v51, v45 :: v_dual_mul_f32 v179, 0xbeb8f4ab, v138
	v_add_f32_e32 v45, v119, v45
	v_fmamk_f32 v121, v58, 0x3eb8f4ab, v128
	v_fmamk_f32 v193, v58, 0x3f7ee86f, v148
	v_mul_f32_e32 v163, 0x3f06c442, v134
	v_mul_f32_e32 v159, 0xbf4c4adb, v134
	v_mul_f32_e32 v177, 0x3f2c7751, v138
	v_dual_fmamk_f32 v224, v135, 0x3f6eb680, v179 :: v_dual_add_f32 v149, v56, v149
	s_delay_alu instid0(VALU_DEP_4) | instskip(SKIP_4) | instid1(VALU_DEP_4)
	v_fmamk_f32 v208, v131, 0xbf59a7d5, v163
	v_fma_f32 v163, 0xbf59a7d5, v131, -v163
	v_dual_mul_f32 v152, 0xbf1a4643, v130 :: v_dual_add_f32 v143, v56, v143
	v_mul_f32_e32 v154, 0xbf59a7d5, v130
	v_mul_f32_e32 v165, 0x3f763a35, v134
	v_dual_mul_f32 v184, 0x3dbcf732, v140 :: v_dual_add_f32 v149, v163, v149
	v_fmamk_f32 v222, v135, 0x3f3d2fb0, v177
	v_fma_f32 v177, 0x3f3d2fb0, v135, -v177
	v_fmamk_f32 v204, v131, 0xbf1a4643, v159
	v_fmac_f32_e32 v128, 0xbeb8f4ab, v58
	v_mul_f32_e32 v150, 0xbe8c1d8e, v130
	v_dual_mul_f32 v130, 0xbf7ba420, v130 :: v_dual_add_f32 v145, v56, v145
	v_add_f32_e32 v119, v57, v121
	v_fmamk_f32 v189, v58, 0x3f2c7751, v144
	v_dual_mul_f32 v174, 0xbf7ba420, v136 :: v_dual_add_f32 v45, v45, v47
	v_mul_f32_e32 v175, 0x3f763a35, v138
	v_fmamk_f32 v197, v58, 0x3f4c4adb, v152
	v_fmamk_f32 v201, v58, 0x3e3c28d5, v130
	;; [unrolled: 1-line block ×3, first 2 shown]
	v_fma_f32 v165, 0xbe8c1d8e, v131, -v165
	v_fmac_f32_e32 v132, 0x3eb8f4ab, v133
	v_dual_fmac_f32 v148, 0xbf7ee86f, v58 :: v_dual_add_f32 v121, v57, v128
	v_fmamk_f32 v195, v58, 0x3f763a35, v150
	v_dual_fmac_f32 v150, 0xbf763a35, v58 :: v_dual_add_f32 v45, v45, v37
	v_add_f32_e32 v128, v57, v189
	v_add_f32_e32 v189, v57, v191
	v_fmamk_f32 v199, v58, 0x3f06c442, v154
	v_add_f32_e32 v151, v56, v151
	v_sub_f32_e32 v141, v44, v50
	v_mul_f32_e32 v155, 0xbf2c7751, v134
	v_mul_f32_e32 v167, 0x3f65296c, v134
	;; [unrolled: 1-line block ×5, first 2 shown]
	v_dual_fmac_f32 v144, 0xbf2c7751, v58 :: v_dual_add_f32 v151, v165, v151
	v_dual_fmac_f32 v154, 0xbf06c442, v58 :: v_dual_add_f32 v45, v45, v39
	v_fmamk_f32 v220, v135, 0xbe8c1d8e, v175
	v_fma_f32 v175, 0xbe8c1d8e, v135, -v175
	v_fma_f32 v179, 0x3f6eb680, v135, -v179
	v_add_f32_e32 v191, v57, v193
	v_fmac_f32_e32 v156, 0xbf2c7751, v133
	v_add_f32_e32 v148, v57, v148
	v_add_f32_e32 v193, v57, v195
	v_fmamk_f32 v205, v133, 0x3f4c4adb, v160
	v_dual_fmamk_f32 v207, v133, 0x3e3c28d5, v162 :: v_dual_add_f32 v44, v118, v44
	v_dual_fmac_f32 v162, 0xbe3c28d5, v133 :: v_dual_add_f32 v151, v179, v151
	v_add_f32_e32 v118, v56, v120
	v_add_f32_e32 v120, v56, v122
	;; [unrolled: 1-line block ×3, first 2 shown]
	v_dual_mul_f32 v170, 0x3ee437d1, v136 :: v_dual_add_f32 v195, v57, v197
	v_add_f32_e32 v197, v57, v199
	v_add_f32_e32 v199, v57, v201
	v_mul_f32_e32 v157, 0xbf7ee86f, v134
	v_mul_f32_e32 v171, 0xbf4c4adb, v138
	;; [unrolled: 1-line block ×4, first 2 shown]
	v_dual_mul_f32 v138, 0xbf06c442, v138 :: v_dual_fmamk_f32 v209, v133, 0xbf06c442, v164
	v_fmac_f32_e32 v158, 0xbf7ee86f, v133
	v_fmac_f32_e32 v160, 0xbf4c4adb, v133
	v_dual_fmamk_f32 v211, v133, 0xbf763a35, v166 :: v_dual_add_f32 v188, v56, v190
	v_fmac_f32_e32 v166, 0x3f763a35, v133
	v_dual_fmamk_f32 v213, v133, 0xbf65296c, v168 :: v_dual_add_f32 v190, v56, v192
	v_fmamk_f32 v218, v135, 0xbf7ba420, v173
	v_dual_fmamk_f32 v219, v137, 0xbe3c28d5, v174 :: v_dual_add_f32 v192, v56, v194
	v_fma_f32 v173, 0xbf7ba420, v135, -v173
	v_fmac_f32_e32 v130, 0xbe3c28d5, v58
	v_fmamk_f32 v226, v135, 0x3dbcf732, v181
	v_fmac_f32_e32 v164, 0x3f06c442, v133
	v_fma_f32 v181, 0x3dbcf732, v135, -v181
	v_fmamk_f32 v212, v131, 0x3ee437d1, v167
	v_fma_f32 v167, 0x3ee437d1, v131, -v167
	v_add_f32_e32 v194, v56, v196
	v_add_f32_e32 v196, v56, v198
	;; [unrolled: 1-line block ×6, first 2 shown]
	v_dual_add_f32 v121, v203, v128 :: v_dual_fmac_f32 v152, 0xbf4c4adb, v58
	v_add_f32_e32 v148, v162, v148
	v_add_f32_e32 v162, v215, v199
	v_fmac_f32_e32 v168, 0x3f65296c, v133
	v_fmamk_f32 v133, v135, 0x3ee437d1, v169
	v_dual_fmac_f32 v146, 0xbf65296c, v58 :: v_dual_add_f32 v153, v167, v153
	v_dual_fmamk_f32 v58, v131, 0x3f3d2fb0, v155 :: v_dual_add_f32 v45, v45, v33
	v_mul_f32_e32 v161, 0xbe3c28d5, v134
	v_fmamk_f32 v202, v131, 0x3dbcf732, v157
	v_fma_f32 v155, 0x3f3d2fb0, v131, -v155
	v_fma_f32 v157, 0x3dbcf732, v131, -v157
	s_delay_alu instid0(VALU_DEP_4) | instskip(SKIP_3) | instid1(VALU_DEP_4)
	v_dual_add_f32 v45, v45, v35 :: v_dual_fmamk_f32 v206, v131, 0xbf7ba420, v161
	v_fma_f32 v159, 0xbf1a4643, v131, -v159
	v_mul_f32_e32 v180, 0x3f6eb680, v136
	v_dual_fmamk_f32 v221, v137, 0xbf763a35, v176 :: v_dual_add_f32 v58, v58, v118
	v_add_f32_e32 v45, v45, v41
	v_dual_fmamk_f32 v223, v137, 0xbf2c7751, v178 :: v_dual_add_f32 v118, v155, v120
	v_dual_add_f32 v153, v181, v153 :: v_dual_add_f32 v120, v202, v122
	s_delay_alu instid0(VALU_DEP_3) | instskip(SKIP_2) | instid1(VALU_DEP_3)
	v_add_f32_e32 v45, v45, v43
	v_dual_add_f32 v122, v157, v143 :: v_dual_add_f32 v143, v159, v145
	v_dual_mul_f32 v134, 0x3eb8f4ab, v134 :: v_dual_fmamk_f32 v225, v137, 0x3eb8f4ab, v180
	v_add_f32_e32 v45, v45, v49
	v_fma_f32 v161, 0xbf7ba420, v131, -v161
	v_add_f32_e32 v144, v57, v144
	v_add_f32_e32 v146, v57, v146
	;; [unrolled: 1-line block ×3, first 2 shown]
	v_dual_add_f32 v45, v45, v51 :: v_dual_fmamk_f32 v214, v131, 0x3f6eb680, v134
	v_fma_f32 v131, 0x3f6eb680, v131, -v134
	v_add_f32_e32 v152, v57, v152
	v_add_f32_e32 v154, v57, v154
	;; [unrolled: 1-line block ×3, first 2 shown]
	v_dual_mul_f32 v182, 0x3dbcf732, v136 :: v_dual_add_f32 v145, v206, v190
	v_dual_add_f32 v56, v131, v56 :: v_dual_add_f32 v131, v173, v143
	v_dual_mul_f32 v172, 0xbf1a4643, v136 :: v_dual_add_f32 v57, v57, v130
	s_delay_alu instid0(VALU_DEP_4) | instskip(SKIP_1) | instid1(VALU_DEP_3)
	v_add_f32_e32 v44, v44, v36
	v_dual_mul_f32 v136, 0xbf59a7d5, v136 :: v_dual_add_f32 v147, v161, v147
	v_fmamk_f32 v217, v137, 0x3f4c4adb, v172
	v_dual_mul_f32 v186, 0xbf7ba420, v140 :: v_dual_add_f32 v157, v210, v194
	s_delay_alu instid0(VALU_DEP_4) | instskip(SKIP_3) | instid1(VALU_DEP_4)
	v_dual_add_f32 v44, v44, v38 :: v_dual_add_f32 v45, v45, v53
	v_fma_f32 v169, 0x3ee437d1, v135, -v169
	v_fmamk_f32 v216, v135, 0xbf1a4643, v171
	v_fma_f32 v171, 0xbf1a4643, v135, -v171
	v_add_f32_e32 v44, v44, v32
	v_fmac_f32_e32 v174, 0x3e3c28d5, v137
	v_fmac_f32_e32 v176, 0x3f763a35, v137
	;; [unrolled: 1-line block ×3, first 2 shown]
	s_delay_alu instid0(VALU_DEP_4)
	v_dual_fmamk_f32 v227, v137, 0x3f7ee86f, v182 :: v_dual_add_f32 v44, v44, v34
	v_fmac_f32_e32 v182, 0xbf7ee86f, v137
	v_fmamk_f32 v228, v135, 0xbf59a7d5, v138
	v_fmamk_f32 v229, v137, 0x3f06c442, v136
	v_fma_f32 v135, 0xbf59a7d5, v135, -v138
	v_add_f32_e32 v44, v44, v40
	v_fmac_f32_e32 v136, 0xbf06c442, v137
	v_fmamk_f32 v231, v141, 0x3e3c28d5, v186
	v_add_f32_e32 v58, v133, v58
	s_delay_alu instid0(VALU_DEP_4)
	v_dual_add_f32 v121, v217, v121 :: v_dual_add_f32 v44, v44, v42
	v_fmamk_f32 v138, v141, 0x3f7ee86f, v184
	v_fmamk_f32 v134, v137, 0x3f65296c, v170
	v_dual_fmac_f32 v170, 0xbf65296c, v137 :: v_dual_add_f32 v45, v45, v55
	v_dual_fmac_f32 v172, 0xbf4c4adb, v137 :: v_dual_add_f32 v143, v175, v147
	v_fmac_f32_e32 v178, 0x3f2c7751, v137
	v_dual_fmamk_f32 v137, v139, 0x3dbcf732, v183 :: v_dual_add_f32 v44, v44, v48
	v_add_f32_e32 v59, v134, v59
	v_add_f32_e32 v147, v177, v149
	;; [unrolled: 1-line block ×8, first 2 shown]
	s_delay_alu instid0(VALU_DEP_4) | instskip(SKIP_1) | instid1(VALU_DEP_4)
	v_dual_add_f32 v63, v231, v121 :: v_dual_add_f32 v44, v44, v52
	v_fmac_f32_e32 v186, 0xbe3c28d5, v141
	v_dual_add_f32 v52, v136, v57 :: v_dual_add_f32 v57, v138, v59
	v_mul_f32_e32 v59, 0xbe8c1d8e, v140
	v_add_f32_e32 v133, v220, v145
	v_add_f32_e32 v145, v222, v155
	;; [unrolled: 1-line block ×4, first 2 shown]
	v_dual_add_f32 v144, v160, v146 :: v_dual_add_f32 v119, v170, v119
	v_dual_add_f32 v51, v229, v162 :: v_dual_fmac_f32 v184, 0xbf7ee86f, v141
	s_delay_alu instid0(VALU_DEP_4)
	v_add_f32_e32 v128, v172, v128
	v_add_f32_e32 v44, v44, v54
	v_mul_f32_e32 v121, 0x3eb8f4ab, v142
	v_fma_f32 v183, 0x3dbcf732, v139, -v183
	v_add_f32_e32 v55, v184, v119
	v_add_f32_e32 v119, v186, v128
	v_dual_add_f32 v129, v218, v129 :: v_dual_add_f32 v44, v44, v62
	v_fmamk_f32 v62, v139, 0xbe8c1d8e, v187
	v_fmamk_f32 v230, v139, 0xbf7ba420, v185
	v_fma_f32 v185, 0xbf7ba420, v139, -v185
	v_add_f32_e32 v122, v171, v122
	v_add_f32_e32 v130, v205, v189
	v_dual_add_f32 v62, v62, v129 :: v_dual_fmamk_f32 v129, v139, 0x3f6eb680, v121
	v_add_f32_e32 v132, v174, v144
	v_add_f32_e32 v146, v207, v191
	s_delay_alu instid0(VALU_DEP_4) | instskip(NEXT) | instid1(VALU_DEP_4)
	v_add_f32_e32 v130, v219, v130
	v_dual_mul_f32 v128, 0x3f6eb680, v140 :: v_dual_add_f32 v129, v129, v133
	v_add_f32_e32 v118, v169, v118
	v_fma_f32 v121, 0x3f6eb680, v139, -v121
	v_add_f32_e32 v56, v135, v56
	v_mul_f32_e32 v133, 0x3ee437d1, v140
	v_mul_f32_e32 v136, 0xbf59a7d5, v140
	v_add_f32_e32 v54, v183, v118
	v_add_f32_e32 v118, v185, v122
	v_fma_f32 v122, 0xbe8c1d8e, v139, -v187
	v_add_f32_e32 v121, v121, v143
	v_mul_f32_e32 v143, 0x3f4c4adb, v142
	v_add_f32_e32 v161, v214, v198
	s_delay_alu instid0(VALU_DEP_4) | instskip(SKIP_2) | instid1(VALU_DEP_2)
	v_dual_fmamk_f32 v135, v141, 0x3f65296c, v133 :: v_dual_add_f32 v122, v122, v131
	v_dual_add_f32 v120, v216, v120 :: v_dual_fmamk_f32 v131, v141, 0xbeb8f4ab, v128
	v_dual_add_f32 v159, v212, v196 :: v_dual_fmac_f32 v128, 0x3eb8f4ab, v141
	v_dual_fmac_f32 v133, 0xbf65296c, v141 :: v_dual_add_f32 v58, v230, v120
	v_fmamk_f32 v120, v141, 0xbf763a35, v59
	v_fmac_f32_e32 v59, 0x3f763a35, v141
	v_fmamk_f32 v138, v141, 0x3f06c442, v136
	v_fmac_f32_e32 v136, 0xbf06c442, v141
	s_delay_alu instid0(VALU_DEP_4) | instskip(NEXT) | instid1(VALU_DEP_4)
	v_add_f32_e32 v120, v120, v130
	v_dual_mul_f32 v130, 0xbf65296c, v142 :: v_dual_add_f32 v59, v59, v132
	s_delay_alu instid0(VALU_DEP_1) | instskip(SKIP_1) | instid1(VALU_DEP_2)
	v_fmamk_f32 v132, v139, 0x3ee437d1, v130
	v_fma_f32 v130, 0x3ee437d1, v139, -v130
	v_add_f32_e32 v132, v132, v145
	v_add_f32_e32 v134, v221, v146
	s_delay_alu instid0(VALU_DEP_3) | instskip(SKIP_1) | instid1(VALU_DEP_3)
	v_dual_add_f32 v130, v130, v147 :: v_dual_fmamk_f32 v145, v139, 0xbf1a4643, v143
	v_fma_f32 v143, 0xbf1a4643, v139, -v143
	v_add_f32_e32 v131, v131, v134
	v_mul_f32_e32 v134, 0xbf06c442, v142
	s_delay_alu instid0(VALU_DEP_3) | instskip(NEXT) | instid1(VALU_DEP_2)
	v_dual_mul_f32 v142, 0x3f2c7751, v142 :: v_dual_add_f32 v143, v143, v153
	v_fmamk_f32 v137, v139, 0xbf59a7d5, v134
	v_fma_f32 v134, 0xbf59a7d5, v139, -v134
	s_delay_alu instid0(VALU_DEP_3) | instskip(SKIP_1) | instid1(VALU_DEP_4)
	v_fmamk_f32 v147, v139, 0x3f3d2fb0, v142
	v_fma_f32 v139, 0x3f3d2fb0, v139, -v142
	v_add_f32_e32 v137, v137, v149
	s_delay_alu instid0(VALU_DEP_2) | instskip(NEXT) | instid1(VALU_DEP_1)
	v_dual_add_f32 v155, v226, v159 :: v_dual_add_f32 v56, v139, v56
	v_dual_add_f32 v50, v228, v161 :: v_dual_add_f32 v145, v145, v155
	s_delay_alu instid0(VALU_DEP_1)
	v_add_f32_e32 v50, v147, v50
	v_sub_f32_e32 v147, v47, v49
	v_add_f32_e32 v47, v49, v47
	v_dual_add_f32 v49, v48, v46 :: v_dual_sub_f32 v46, v46, v48
	v_add_f32_e32 v144, v176, v148
	v_add_f32_e32 v156, v209, v193
	s_delay_alu instid0(VALU_DEP_4) | instskip(SKIP_1) | instid1(VALU_DEP_4)
	v_mul_f32_e32 v48, 0xbe8c1d8e, v47
	v_mul_f32_e32 v142, 0xbf763a35, v147
	v_add_f32_e32 v128, v128, v144
	v_mul_f32_e32 v144, 0xbf1a4643, v140
	s_delay_alu instid0(VALU_DEP_4) | instskip(SKIP_1) | instid1(VALU_DEP_2)
	v_dual_fmamk_f32 v139, v46, 0x3f763a35, v48 :: v_dual_add_f32 v150, v164, v150
	v_mul_f32_e32 v140, 0x3f3d2fb0, v140
	v_dual_fmac_f32 v48, 0xbf763a35, v46 :: v_dual_add_f32 v57, v139, v57
	s_delay_alu instid0(VALU_DEP_3) | instskip(NEXT) | instid1(VALU_DEP_2)
	v_add_f32_e32 v148, v178, v150
	v_add_f32_e32 v48, v48, v55
	v_dual_mul_f32 v55, 0x3f2c7751, v147 :: v_dual_add_f32 v152, v166, v152
	s_delay_alu instid0(VALU_DEP_3) | instskip(SKIP_1) | instid1(VALU_DEP_1)
	v_add_f32_e32 v133, v133, v148
	v_fmamk_f32 v148, v141, 0xbf2c7751, v140
	v_dual_fmac_f32 v140, 0x3f2c7751, v141 :: v_dual_add_f32 v51, v148, v51
	s_delay_alu instid0(VALU_DEP_1) | instskip(SKIP_3) | instid1(VALU_DEP_3)
	v_add_f32_e32 v52, v140, v52
	v_mul_f32_e32 v140, 0x3f06c442, v147
	v_add_f32_e32 v158, v211, v195
	v_mul_f32_e32 v148, 0x3f3d2fb0, v47
	v_fmamk_f32 v139, v49, 0xbf59a7d5, v140
	s_delay_alu instid0(VALU_DEP_3) | instskip(SKIP_1) | instid1(VALU_DEP_3)
	v_add_f32_e32 v150, v225, v158
	v_fma_f32 v140, 0xbf59a7d5, v49, -v140
	v_add_f32_e32 v58, v139, v58
	s_delay_alu instid0(VALU_DEP_3) | instskip(SKIP_1) | instid1(VALU_DEP_4)
	v_add_f32_e32 v138, v138, v150
	v_add_f32_e32 v146, v223, v156
	;; [unrolled: 1-line block ×3, first 2 shown]
	s_delay_alu instid0(VALU_DEP_2) | instskip(SKIP_3) | instid1(VALU_DEP_1)
	v_dual_mul_f32 v140, 0xbf65296c, v147 :: v_dual_add_f32 v135, v135, v146
	v_fmamk_f32 v146, v141, 0xbf4c4adb, v144
	v_fmac_f32_e32 v144, 0x3f4c4adb, v141
	v_fmamk_f32 v141, v49, 0xbe8c1d8e, v142
	v_add_f32_e32 v53, v141, v53
	v_fma_f32 v141, 0xbe8c1d8e, v49, -v142
	v_mul_f32_e32 v142, 0xbf59a7d5, v47
	v_add_f32_e32 v160, v213, v197
	s_delay_alu instid0(VALU_DEP_2) | instskip(SKIP_3) | instid1(VALU_DEP_4)
	v_dual_add_f32 v54, v141, v54 :: v_dual_fmamk_f32 v139, v46, 0xbf06c442, v142
	v_fmamk_f32 v141, v49, 0x3f3d2fb0, v55
	v_fmac_f32_e32 v142, 0x3f06c442, v46
	v_fma_f32 v55, 0x3f3d2fb0, v49, -v55
	v_dual_add_f32 v154, v168, v154 :: v_dual_add_f32 v63, v139, v63
	v_fmamk_f32 v139, v46, 0xbf2c7751, v148
	s_delay_alu instid0(VALU_DEP_4) | instskip(SKIP_2) | instid1(VALU_DEP_4)
	v_dual_add_f32 v119, v142, v119 :: v_dual_add_f32 v62, v141, v62
	v_mul_f32_e32 v141, 0x3ee437d1, v47
	v_add_f32_e32 v55, v55, v122
	v_dual_add_f32 v120, v139, v120 :: v_dual_fmamk_f32 v139, v49, 0x3ee437d1, v140
	v_mul_f32_e32 v142, 0xbe3c28d5, v147
	s_delay_alu instid0(VALU_DEP_4)
	v_fmamk_f32 v122, v46, 0x3f65296c, v141
	v_fmac_f32_e32 v148, 0x3f2c7751, v46
	v_fmac_f32_e32 v141, 0xbf65296c, v46
	v_add_f32_e32 v129, v139, v129
	v_fma_f32 v139, 0x3ee437d1, v49, -v140
	v_dual_add_f32 v122, v122, v131 :: v_dual_fmamk_f32 v131, v49, 0xbf7ba420, v142
	v_mul_f32_e32 v140, 0xbf7ba420, v47
	v_add_f32_e32 v59, v148, v59
	s_delay_alu instid0(VALU_DEP_4) | instskip(SKIP_1) | instid1(VALU_DEP_4)
	v_add_f32_e32 v121, v139, v121
	v_dual_mul_f32 v139, 0x3f7ee86f, v147 :: v_dual_add_f32 v128, v141, v128
	v_dual_add_f32 v131, v131, v132 :: v_dual_fmamk_f32 v132, v46, 0x3e3c28d5, v140
	v_fma_f32 v141, 0xbf7ba420, v49, -v142
	v_fmac_f32_e32 v140, 0xbe3c28d5, v46
	s_delay_alu instid0(VALU_DEP_4) | instskip(SKIP_2) | instid1(VALU_DEP_4)
	v_fmamk_f32 v142, v49, 0x3dbcf732, v139
	v_mul_f32_e32 v148, 0x3dbcf732, v47
	v_add_f32_e32 v132, v132, v135
	v_dual_add_f32 v130, v141, v130 :: v_dual_add_f32 v133, v140, v133
	s_delay_alu instid0(VALU_DEP_4) | instskip(NEXT) | instid1(VALU_DEP_4)
	v_add_f32_e32 v135, v142, v137
	v_fmamk_f32 v137, v46, 0xbf7ee86f, v148
	v_mul_f32_e32 v140, 0xbeb8f4ab, v147
	v_mul_f32_e32 v142, 0xbf4c4adb, v147
	v_fma_f32 v139, 0x3dbcf732, v49, -v139
	v_mul_f32_e32 v141, 0x3f6eb680, v47
	v_add_f32_e32 v137, v137, v138
	v_fmamk_f32 v138, v49, 0x3f6eb680, v140
	v_fma_f32 v140, 0x3f6eb680, v49, -v140
	v_dual_mul_f32 v47, 0xbf1a4643, v47 :: v_dual_add_f32 v156, v227, v160
	v_fmac_f32_e32 v148, 0x3f7ee86f, v46
	s_delay_alu instid0(VALU_DEP_4) | instskip(NEXT) | instid1(VALU_DEP_4)
	v_dual_add_f32 v138, v138, v145 :: v_dual_fmamk_f32 v145, v49, 0xbf1a4643, v142
	v_add_f32_e32 v140, v140, v143
	v_sub_f32_e32 v143, v37, v43
	v_add_f32_e32 v37, v43, v37
	v_fma_f32 v43, 0xbf1a4643, v49, -v142
	v_dual_add_f32 v50, v145, v50 :: v_dual_add_f32 v145, v42, v36
	v_add_f32_e32 v134, v134, v151
	s_delay_alu instid0(VALU_DEP_3) | instskip(SKIP_2) | instid1(VALU_DEP_4)
	v_dual_sub_f32 v36, v36, v42 :: v_dual_add_f32 v43, v43, v56
	v_mul_f32_e32 v56, 0xbe8c1d8e, v37
	v_mul_f32_e32 v142, 0xbf59a7d5, v37
	v_dual_add_f32 v134, v139, v134 :: v_dual_fmamk_f32 v139, v46, 0x3eb8f4ab, v141
	v_fmac_f32_e32 v141, 0xbeb8f4ab, v46
	v_add_f32_e32 v154, v182, v154
	s_delay_alu instid0(VALU_DEP_1) | instskip(NEXT) | instid1(VALU_DEP_1)
	v_add_f32_e32 v144, v144, v154
	v_dual_add_f32 v141, v141, v144 :: v_dual_fmamk_f32 v144, v46, 0x3f4c4adb, v47
	v_dual_fmac_f32 v47, 0xbf4c4adb, v46 :: v_dual_add_f32 v146, v146, v156
	v_add_f32_e32 v152, v180, v152
	s_delay_alu instid0(VALU_DEP_3) | instskip(NEXT) | instid1(VALU_DEP_3)
	v_dual_mul_f32 v46, 0xbf1a4643, v37 :: v_dual_add_f32 v49, v144, v51
	v_add_f32_e32 v47, v47, v52
	s_delay_alu instid0(VALU_DEP_4) | instskip(NEXT) | instid1(VALU_DEP_3)
	v_dual_add_f32 v139, v139, v146 :: v_dual_mul_f32 v146, 0xbf4c4adb, v143
	v_fmamk_f32 v51, v36, 0x3f4c4adb, v46
	v_mul_f32_e32 v52, 0x3f763a35, v143
	v_fmac_f32_e32 v46, 0xbf4c4adb, v36
	s_delay_alu instid0(VALU_DEP_3) | instskip(NEXT) | instid1(VALU_DEP_2)
	v_dual_fmamk_f32 v42, v145, 0xbf1a4643, v146 :: v_dual_add_f32 v51, v51, v57
	v_dual_fmamk_f32 v57, v145, 0xbe8c1d8e, v52 :: v_dual_add_f32 v46, v46, v48
	v_fmamk_f32 v48, v36, 0xbf763a35, v56
	s_delay_alu instid0(VALU_DEP_3) | instskip(SKIP_3) | instid1(VALU_DEP_3)
	v_add_f32_e32 v42, v42, v53
	v_fma_f32 v53, 0xbf1a4643, v145, -v146
	v_fma_f32 v52, 0xbe8c1d8e, v145, -v52
	v_dual_add_f32 v57, v57, v58 :: v_dual_fmac_f32 v56, 0x3f763a35, v36
	v_dual_add_f32 v48, v48, v63 :: v_dual_add_f32 v53, v53, v54
	v_mul_f32_e32 v54, 0xbeb8f4ab, v143
	s_delay_alu instid0(VALU_DEP_4) | instskip(SKIP_2) | instid1(VALU_DEP_4)
	v_dual_mul_f32 v63, 0x3f6eb680, v37 :: v_dual_add_f32 v52, v52, v118
	v_mul_f32_e32 v118, 0xbf06c442, v143
	v_add_f32_e32 v56, v56, v119
	v_fmamk_f32 v58, v145, 0x3f6eb680, v54
	v_fma_f32 v54, 0x3f6eb680, v145, -v54
	s_delay_alu instid0(VALU_DEP_4) | instskip(SKIP_1) | instid1(VALU_DEP_4)
	v_fmamk_f32 v119, v145, 0xbf59a7d5, v118
	v_fma_f32 v118, 0xbf59a7d5, v145, -v118
	v_add_f32_e32 v58, v58, v62
	v_fmamk_f32 v62, v36, 0x3eb8f4ab, v63
	v_dual_fmac_f32 v63, 0xbeb8f4ab, v36 :: v_dual_add_f32 v54, v54, v55
	s_delay_alu instid0(VALU_DEP_4) | instskip(NEXT) | instid1(VALU_DEP_2)
	v_add_f32_e32 v118, v118, v121
	v_dual_add_f32 v62, v62, v120 :: v_dual_add_f32 v55, v63, v59
	v_add_f32_e32 v59, v119, v129
	v_fmamk_f32 v63, v36, 0x3f06c442, v142
	v_mul_f32_e32 v119, 0x3f7ee86f, v143
	v_fmac_f32_e32 v142, 0xbf06c442, v36
	v_mul_f32_e32 v120, 0x3dbcf732, v37
	v_mul_f32_e32 v129, 0xbf2c7751, v143
	s_delay_alu instid0(VALU_DEP_4) | instskip(SKIP_1) | instid1(VALU_DEP_4)
	v_dual_add_f32 v63, v63, v122 :: v_dual_fmamk_f32 v122, v145, 0x3dbcf732, v119
	v_fma_f32 v119, 0x3dbcf732, v145, -v119
	v_dual_add_f32 v121, v142, v128 :: v_dual_fmamk_f32 v128, v36, 0xbf7ee86f, v120
	v_fmac_f32_e32 v120, 0x3f7ee86f, v36
	s_delay_alu instid0(VALU_DEP_4) | instskip(NEXT) | instid1(VALU_DEP_4)
	v_dual_add_f32 v122, v122, v131 :: v_dual_fmamk_f32 v131, v145, 0x3f3d2fb0, v129
	v_dual_add_f32 v119, v119, v130 :: v_dual_mul_f32 v130, 0xbe3c28d5, v143
	v_fma_f32 v129, 0x3f3d2fb0, v145, -v129
	v_add_f32_e32 v128, v128, v132
	s_delay_alu instid0(VALU_DEP_4) | instskip(NEXT) | instid1(VALU_DEP_4)
	v_dual_mul_f32 v132, 0x3f3d2fb0, v37 :: v_dual_add_f32 v131, v131, v135
	v_fmamk_f32 v135, v145, 0xbf7ba420, v130
	s_delay_alu instid0(VALU_DEP_4)
	v_dual_add_f32 v129, v129, v134 :: v_dual_add_f32 v136, v136, v152
	v_fma_f32 v130, 0xbf7ba420, v145, -v130
	v_add_f32_e32 v120, v120, v133
	v_fmamk_f32 v133, v36, 0x3f2c7751, v132
	v_fmac_f32_e32 v132, 0xbf2c7751, v36
	v_mul_f32_e32 v142, 0xbf7ba420, v37
	v_dual_mul_f32 v37, 0x3ee437d1, v37 :: v_dual_add_f32 v130, v130, v140
	v_dual_sub_f32 v140, v39, v41 :: v_dual_add_f32 v39, v41, v39
	v_dual_add_f32 v136, v148, v136 :: v_dual_add_f32 v133, v133, v137
	s_delay_alu instid0(VALU_DEP_4) | instskip(SKIP_1) | instid1(VALU_DEP_3)
	v_dual_add_f32 v134, v135, v138 :: v_dual_fmamk_f32 v135, v36, 0x3e3c28d5, v142
	v_fmac_f32_e32 v142, 0xbe3c28d5, v36
	v_add_f32_e32 v132, v132, v136
	v_mul_f32_e32 v136, 0x3f65296c, v143
	v_fmamk_f32 v138, v36, 0xbf65296c, v37
	v_mul_f32_e32 v41, 0xbf06c442, v140
	v_fmac_f32_e32 v37, 0x3f65296c, v36
	s_delay_alu instid0(VALU_DEP_4) | instskip(SKIP_2) | instid1(VALU_DEP_4)
	v_dual_sub_f32 v36, v38, v40 :: v_dual_fmamk_f32 v137, v145, 0x3ee437d1, v136
	v_fma_f32 v136, 0x3ee437d1, v145, -v136
	v_add_f32_e32 v49, v138, v49
	v_add_f32_e32 v37, v37, v47
	s_delay_alu instid0(VALU_DEP_4) | instskip(SKIP_3) | instid1(VALU_DEP_3)
	v_dual_mul_f32 v47, 0x3f65296c, v140 :: v_dual_add_f32 v50, v137, v50
	v_dual_add_f32 v137, v40, v38 :: v_dual_mul_f32 v38, 0xbf59a7d5, v39
	v_add_f32_e32 v43, v136, v43
	v_add_f32_e32 v135, v135, v139
	v_dual_add_f32 v139, v142, v141 :: v_dual_fmamk_f32 v40, v137, 0xbf59a7d5, v41
	s_delay_alu instid0(VALU_DEP_4) | instskip(SKIP_2) | instid1(VALU_DEP_4)
	v_fmamk_f32 v136, v36, 0x3f06c442, v38
	v_fma_f32 v41, 0xbf59a7d5, v137, -v41
	v_fmac_f32_e32 v38, 0xbf06c442, v36
	v_add_f32_e32 v40, v40, v42
	s_delay_alu instid0(VALU_DEP_4) | instskip(NEXT) | instid1(VALU_DEP_4)
	v_dual_fmamk_f32 v42, v137, 0x3ee437d1, v47 :: v_dual_add_f32 v51, v136, v51
	v_dual_mul_f32 v136, 0x3ee437d1, v39 :: v_dual_add_f32 v41, v41, v53
	s_delay_alu instid0(VALU_DEP_4) | instskip(NEXT) | instid1(VALU_DEP_3)
	v_add_f32_e32 v38, v38, v46
	v_add_f32_e32 v42, v42, v57
	v_mul_f32_e32 v46, 0xbf7ee86f, v140
	s_delay_alu instid0(VALU_DEP_4) | instskip(SKIP_4) | instid1(VALU_DEP_4)
	v_fmamk_f32 v53, v36, 0xbf65296c, v136
	v_mul_f32_e32 v57, 0x3dbcf732, v39
	v_fma_f32 v47, 0x3ee437d1, v137, -v47
	v_fmac_f32_e32 v136, 0x3f65296c, v36
	v_fmamk_f32 v138, v137, 0x3dbcf732, v46
	v_dual_add_f32 v48, v53, v48 :: v_dual_fmamk_f32 v53, v36, 0x3f7ee86f, v57
	s_delay_alu instid0(VALU_DEP_4) | instskip(NEXT) | instid1(VALU_DEP_4)
	v_add_f32_e32 v47, v47, v52
	v_add_f32_e32 v52, v136, v56
	s_delay_alu instid0(VALU_DEP_4) | instskip(SKIP_4) | instid1(VALU_DEP_4)
	v_add_f32_e32 v56, v138, v58
	v_mul_f32_e32 v58, 0x3f4c4adb, v140
	v_fma_f32 v46, 0x3dbcf732, v137, -v46
	v_fmac_f32_e32 v57, 0xbf7ee86f, v36
	v_dual_add_f32 v53, v53, v62 :: v_dual_mul_f32 v62, 0xbf1a4643, v39
	v_fmamk_f32 v136, v137, 0xbf1a4643, v58
	s_delay_alu instid0(VALU_DEP_4) | instskip(NEXT) | instid1(VALU_DEP_4)
	v_add_f32_e32 v46, v46, v54
	v_dual_add_f32 v54, v57, v55 :: v_dual_mul_f32 v55, 0xbeb8f4ab, v140
	s_delay_alu instid0(VALU_DEP_4) | instskip(NEXT) | instid1(VALU_DEP_4)
	v_fmamk_f32 v57, v36, 0xbf4c4adb, v62
	v_add_f32_e32 v59, v136, v59
	v_fma_f32 v58, 0xbf1a4643, v137, -v58
	v_fmac_f32_e32 v62, 0x3f4c4adb, v36
	v_fmamk_f32 v136, v137, 0x3f6eb680, v55
	v_add_f32_e32 v57, v57, v63
	s_delay_alu instid0(VALU_DEP_4) | instskip(NEXT) | instid1(VALU_DEP_4)
	v_dual_mul_f32 v63, 0x3f6eb680, v39 :: v_dual_add_f32 v58, v58, v118
	v_add_f32_e32 v62, v62, v121
	s_delay_alu instid0(VALU_DEP_4) | instskip(NEXT) | instid1(VALU_DEP_3)
	v_dual_add_f32 v118, v136, v122 :: v_dual_mul_f32 v121, 0xbe3c28d5, v140
	v_fmamk_f32 v122, v36, 0x3eb8f4ab, v63
	v_fma_f32 v55, 0x3f6eb680, v137, -v55
	v_mul_f32_e32 v136, 0xbf7ba420, v39
	v_fmac_f32_e32 v63, 0xbeb8f4ab, v36
	v_fmamk_f32 v138, v137, 0xbf7ba420, v121
	s_delay_alu instid0(VALU_DEP_4) | instskip(NEXT) | instid1(VALU_DEP_4)
	v_dual_add_f32 v122, v122, v128 :: v_dual_add_f32 v55, v55, v119
	v_fmamk_f32 v119, v36, 0x3e3c28d5, v136
	v_mul_f32_e32 v128, 0x3f2c7751, v140
	v_fma_f32 v121, 0xbf7ba420, v137, -v121
	v_fmac_f32_e32 v136, 0xbe3c28d5, v36
	v_dual_add_f32 v63, v63, v120 :: v_dual_add_f32 v120, v138, v131
	v_add_f32_e32 v119, v119, v133
	v_mul_f32_e32 v131, 0x3f3d2fb0, v39
	v_fmamk_f32 v133, v137, 0x3f3d2fb0, v128
	v_add_f32_e32 v121, v121, v129
	v_add_f32_e32 v129, v136, v132
	v_mul_f32_e32 v132, 0xbf763a35, v140
	s_delay_alu instid0(VALU_DEP_4) | instskip(SKIP_2) | instid1(VALU_DEP_4)
	v_dual_fmamk_f32 v136, v36, 0xbf2c7751, v131 :: v_dual_add_f32 v133, v133, v134
	v_fma_f32 v128, 0x3f3d2fb0, v137, -v128
	v_fmac_f32_e32 v131, 0x3f2c7751, v36
	v_dual_fmamk_f32 v134, v137, 0xbe8c1d8e, v132 :: v_dual_mul_f32 v39, 0xbe8c1d8e, v39
	s_delay_alu instid0(VALU_DEP_4) | instskip(NEXT) | instid1(VALU_DEP_4)
	v_add_f32_e32 v135, v136, v135
	v_add_f32_e32 v128, v128, v130
	s_delay_alu instid0(VALU_DEP_3) | instskip(SKIP_4) | instid1(VALU_DEP_4)
	v_dual_add_f32 v130, v131, v139 :: v_dual_add_f32 v131, v134, v50
	v_sub_f32_e32 v134, v33, v35
	v_fmamk_f32 v50, v36, 0x3f763a35, v39
	v_fma_f32 v132, 0xbe8c1d8e, v137, -v132
	v_dual_add_f32 v136, v35, v33 :: v_dual_add_f32 v137, v34, v32
	v_mul_f32_e32 v33, 0xbe3c28d5, v134
	v_dual_fmac_f32 v39, 0xbf763a35, v36 :: v_dual_sub_f32 v138, v32, v34
	s_delay_alu instid0(VALU_DEP_3) | instskip(NEXT) | instid1(VALU_DEP_3)
	v_dual_mul_f32 v35, 0xbf7ba420, v136 :: v_dual_add_f32 v132, v132, v43
	v_fmamk_f32 v32, v137, 0xbf7ba420, v33
	s_delay_alu instid0(VALU_DEP_3) | instskip(NEXT) | instid1(VALU_DEP_3)
	v_dual_add_f32 v140, v39, v37 :: v_dual_mul_f32 v37, 0x3eb8f4ab, v134
	v_fmamk_f32 v34, v138, 0x3e3c28d5, v35
	v_fma_f32 v36, 0xbf7ba420, v137, -v33
	s_delay_alu instid0(VALU_DEP_4) | instskip(NEXT) | instid1(VALU_DEP_4)
	v_dual_add_f32 v32, v32, v40 :: v_dual_fmac_f32 v35, 0xbe3c28d5, v138
	v_dual_fmamk_f32 v39, v137, 0x3f6eb680, v37 :: v_dual_mul_f32 v40, 0x3f6eb680, v136
	s_delay_alu instid0(VALU_DEP_3) | instskip(NEXT) | instid1(VALU_DEP_3)
	v_dual_add_f32 v33, v34, v51 :: v_dual_add_f32 v34, v36, v41
	v_add_f32_e32 v35, v35, v38
	v_mul_f32_e32 v41, 0xbf06c442, v134
	s_delay_alu instid0(VALU_DEP_4) | instskip(SKIP_4) | instid1(VALU_DEP_3)
	v_add_f32_e32 v36, v39, v42
	v_fmamk_f32 v38, v138, 0xbeb8f4ab, v40
	v_fma_f32 v39, 0x3f6eb680, v137, -v37
	v_fmac_f32_e32 v40, 0x3eb8f4ab, v138
	v_dual_fmamk_f32 v42, v137, 0xbf59a7d5, v41 :: v_dual_mul_f32 v43, 0xbf59a7d5, v136
	v_dual_add_f32 v37, v38, v48 :: v_dual_add_f32 v38, v39, v47
	v_mul_f32_e32 v47, 0x3f2c7751, v134
	v_add_f32_e32 v139, v50, v49
	v_add_f32_e32 v39, v40, v52
	v_add_f32_e32 v40, v42, v56
	v_fmamk_f32 v42, v138, 0x3f06c442, v43
	v_fma_f32 v48, 0xbf59a7d5, v137, -v41
	v_dual_mul_f32 v49, 0x3f3d2fb0, v136 :: v_dual_fmamk_f32 v50, v137, 0x3f3d2fb0, v47
	v_mul_f32_e32 v51, 0xbf4c4adb, v134
	v_fmac_f32_e32 v43, 0xbf06c442, v138
	s_delay_alu instid0(VALU_DEP_4) | instskip(NEXT) | instid1(VALU_DEP_4)
	v_dual_add_f32 v41, v42, v53 :: v_dual_add_f32 v42, v48, v46
	v_fmamk_f32 v48, v138, 0xbf2c7751, v49
	v_add_f32_e32 v46, v50, v59
	v_fma_f32 v50, 0x3f3d2fb0, v137, -v47
	v_dual_fmamk_f32 v52, v137, 0xbf1a4643, v51 :: v_dual_mul_f32 v53, 0xbf1a4643, v136
	v_add_f32_e32 v43, v43, v54
	s_delay_alu instid0(VALU_DEP_3) | instskip(SKIP_1) | instid1(VALU_DEP_4)
	v_dual_add_f32 v47, v48, v57 :: v_dual_add_f32 v48, v50, v58
	v_mul_f32_e32 v56, 0x3f65296c, v134
	v_add_f32_e32 v50, v52, v118
	v_fmamk_f32 v52, v138, 0x3f4c4adb, v53
	v_fma_f32 v54, 0xbf1a4643, v137, -v51
	v_fmac_f32_e32 v53, 0xbf4c4adb, v138
	v_mul_f32_e32 v58, 0x3ee437d1, v136
	v_fmac_f32_e32 v49, 0x3f2c7751, v138
	v_fmamk_f32 v57, v137, 0x3ee437d1, v56
	v_dual_add_f32 v51, v52, v122 :: v_dual_add_f32 v52, v54, v55
	v_add_f32_e32 v53, v53, v63
	v_fmamk_f32 v55, v138, 0xbf65296c, v58
	v_mul_f32_e32 v59, 0xbf763a35, v134
	v_fma_f32 v56, 0x3ee437d1, v137, -v56
	v_mul_f32_e32 v63, 0xbe8c1d8e, v136
	v_add_f32_e32 v49, v49, v62
	v_add_f32_e32 v54, v57, v120
	v_dual_fmac_f32 v58, 0x3f65296c, v138 :: v_dual_add_f32 v55, v55, v119
	v_fmamk_f32 v62, v137, 0xbe8c1d8e, v59
	v_add_f32_e32 v56, v56, v121
	v_fmamk_f32 v118, v138, 0x3f763a35, v63
	v_fma_f32 v119, 0xbe8c1d8e, v137, -v59
	v_mul_f32_e32 v120, 0x3f7ee86f, v134
	v_mul_f32_e32 v121, 0x3dbcf732, v136
	v_add_f32_e32 v57, v58, v129
	v_add_f32_e32 v58, v62, v133
	v_dual_add_f32 v59, v118, v135 :: v_dual_add_f32 v62, v119, v128
	v_fmamk_f32 v118, v137, 0x3dbcf732, v120
	v_fmamk_f32 v119, v138, 0xbf7ee86f, v121
	v_fma_f32 v120, 0x3dbcf732, v137, -v120
	v_fmac_f32_e32 v121, 0x3f7ee86f, v138
	s_delay_alu instid0(VALU_DEP_4) | instskip(NEXT) | instid1(VALU_DEP_3)
	v_dual_fmac_f32 v63, 0xbf763a35, v138 :: v_dual_add_f32 v118, v118, v131
	v_dual_add_f32 v119, v119, v139 :: v_dual_add_f32 v120, v120, v132
	s_delay_alu instid0(VALU_DEP_3) | instskip(NEXT) | instid1(VALU_DEP_3)
	v_add_f32_e32 v121, v121, v140
	v_add_f32_e32 v63, v63, v130
	ds_store_2addr_b64 v127, v[44:45], v[32:33] offset1:1
	ds_store_2addr_b64 v127, v[36:37], v[40:41] offset0:2 offset1:3
	ds_store_2addr_b64 v127, v[46:47], v[50:51] offset0:4 offset1:5
	;; [unrolled: 1-line block ×7, first 2 shown]
	ds_store_b64 v127, v[34:35] offset:128
	global_wb scope:SCOPE_SE
	s_wait_dscnt 0x0
	s_barrier_signal -1
	s_barrier_wait -1
	global_inv scope:SCOPE_SE
	ds_load_2addr_b64 v[32:35], v124 offset1:34
	ds_load_2addr_b64 v[36:39], v124 offset0:68 offset1:102
	ds_load_2addr_b64 v[40:43], v124 offset0:136 offset1:170
	;; [unrolled: 1-line block ×7, first 2 shown]
	ds_load_b64 v[62:63], v124 offset:4352
	global_wb scope:SCOPE_SE
	s_wait_dscnt 0x0
	s_barrier_signal -1
	s_barrier_wait -1
	global_inv scope:SCOPE_SE
	v_mul_f32_e32 v122, v29, v35
	v_mul_f32_e32 v29, v29, v34
	s_delay_alu instid0(VALU_DEP_2) | instskip(SKIP_2) | instid1(VALU_DEP_4)
	v_fmac_f32_e32 v122, v28, v34
	v_mul_f32_e32 v34, v31, v37
	v_mul_f32_e32 v31, v31, v36
	v_fma_f32 v29, v28, v35, -v29
	v_mul_f32_e32 v35, v25, v39
	v_dual_mul_f32 v25, v25, v38 :: v_dual_mul_f32 v28, v27, v41
	v_mul_f32_e32 v27, v27, v40
	v_fmac_f32_e32 v34, v30, v36
	v_fma_f32 v30, v30, v37, -v31
	v_fmac_f32_e32 v35, v24, v38
	v_fma_f32 v31, v24, v39, -v25
	v_fmac_f32_e32 v28, v26, v40
	v_mul_f32_e32 v24, v23, v45
	v_fma_f32 v26, v26, v41, -v27
	v_dual_mul_f32 v27, v23, v44 :: v_dual_add_f32 v36, v33, v29
	s_delay_alu instid0(VALU_DEP_3) | instskip(SKIP_1) | instid1(VALU_DEP_3)
	v_dual_mul_f32 v25, v21, v43 :: v_dual_fmac_f32 v24, v22, v44
	v_mul_f32_e32 v21, v21, v42
	v_fma_f32 v22, v22, v45, -v27
	v_add_f32_e32 v27, v32, v122
	v_add_f32_e32 v36, v36, v30
	v_fmac_f32_e32 v25, v20, v42
	v_fma_f32 v23, v20, v43, -v21
	s_delay_alu instid0(VALU_DEP_4) | instskip(NEXT) | instid1(VALU_DEP_4)
	v_dual_mul_f32 v20, v5, v47 :: v_dual_add_f32 v27, v27, v34
	v_dual_mul_f32 v5, v5, v46 :: v_dual_add_f32 v36, v36, v31
	v_mul_f32_e32 v37, v9, v58
	s_delay_alu instid0(VALU_DEP_3) | instskip(NEXT) | instid1(VALU_DEP_3)
	v_dual_fmac_f32 v20, v4, v46 :: v_dual_add_f32 v27, v27, v35
	v_fma_f32 v21, v4, v47, -v5
	v_mul_f32_e32 v4, v7, v49
	v_dual_mul_f32 v7, v7, v48 :: v_dual_add_f32 v36, v36, v26
	s_delay_alu instid0(VALU_DEP_4) | instskip(NEXT) | instid1(VALU_DEP_3)
	v_add_f32_e32 v27, v27, v28
	v_dual_mul_f32 v5, v17, v51 :: v_dual_fmac_f32 v4, v6, v48
	s_delay_alu instid0(VALU_DEP_3)
	v_fma_f32 v6, v6, v49, -v7
	v_mul_f32_e32 v7, v17, v50
	v_mul_f32_e32 v17, v19, v53
	v_mul_f32_e32 v19, v19, v52
	v_dual_add_f32 v27, v27, v25 :: v_dual_add_f32 v36, v36, v23
	v_fmac_f32_e32 v5, v16, v50
	v_fma_f32 v7, v16, v51, -v7
	s_delay_alu instid0(VALU_DEP_4) | instskip(NEXT) | instid1(VALU_DEP_4)
	v_fma_f32 v16, v18, v53, -v19
	v_add_f32_e32 v19, v27, v24
	v_add_f32_e32 v27, v36, v22
	v_dual_fmac_f32 v17, v18, v52 :: v_dual_mul_f32 v18, v13, v55
	v_dual_mul_f32 v36, v13, v54 :: v_dual_mul_f32 v13, v15, v57
	s_delay_alu instid0(VALU_DEP_3) | instskip(NEXT) | instid1(VALU_DEP_3)
	v_add_f32_e32 v27, v27, v21
	v_dual_mul_f32 v15, v15, v56 :: v_dual_fmac_f32 v18, v12, v54
	v_add_f32_e32 v19, v19, v20
	s_delay_alu instid0(VALU_DEP_4) | instskip(NEXT) | instid1(VALU_DEP_4)
	v_fma_f32 v12, v12, v55, -v36
	v_dual_add_f32 v27, v27, v6 :: v_dual_mul_f32 v36, v9, v59
	s_delay_alu instid0(VALU_DEP_4) | instskip(NEXT) | instid1(VALU_DEP_4)
	v_fma_f32 v9, v14, v57, -v15
	v_add_f32_e32 v19, v19, v4
	v_fmac_f32_e32 v13, v14, v56
	s_delay_alu instid0(VALU_DEP_4) | instskip(SKIP_1) | instid1(VALU_DEP_4)
	v_dual_add_f32 v15, v27, v7 :: v_dual_fmac_f32 v36, v8, v58
	v_fma_f32 v8, v8, v59, -v37
	v_add_f32_e32 v14, v19, v5
	v_mul_f32_e32 v19, v11, v119
	s_delay_alu instid0(VALU_DEP_4)
	v_add_f32_e32 v15, v15, v16
	v_mul_f32_e32 v11, v11, v118
	v_mul_f32_e32 v27, v1, v121
	v_add_f32_e32 v14, v14, v17
	v_fmac_f32_e32 v19, v10, v118
	v_add_f32_e32 v15, v15, v12
	v_fma_f32 v10, v10, v119, -v11
	v_mul_f32_e32 v11, v3, v62
	v_mul_f32_e32 v3, v3, v63
	;; [unrolled: 1-line block ×3, first 2 shown]
	v_dual_add_f32 v15, v15, v9 :: v_dual_add_f32 v14, v14, v18
	s_delay_alu instid0(VALU_DEP_4) | instskip(NEXT) | instid1(VALU_DEP_4)
	v_fma_f32 v11, v2, v63, -v11
	v_fmac_f32_e32 v3, v2, v62
	s_delay_alu instid0(VALU_DEP_4) | instskip(NEXT) | instid1(VALU_DEP_4)
	v_fma_f32 v2, v0, v121, -v1
	v_dual_add_f32 v15, v15, v8 :: v_dual_add_f32 v14, v14, v13
	s_delay_alu instid0(VALU_DEP_4) | instskip(SKIP_1) | instid1(VALU_DEP_4)
	v_sub_f32_e32 v37, v29, v11
	v_fmac_f32_e32 v27, v0, v120
	v_sub_f32_e32 v121, v30, v2
	s_delay_alu instid0(VALU_DEP_4) | instskip(SKIP_3) | instid1(VALU_DEP_4)
	v_add_f32_e32 v1, v15, v10
	v_add_f32_e32 v15, v29, v11
	v_dual_sub_f32 v38, v122, v3 :: v_dual_mul_f32 v55, 0xbf4c4adb, v37
	v_mul_f32_e32 v29, 0xbeb8f4ab, v37
	v_add_f32_e32 v1, v1, v2
	s_delay_alu instid0(VALU_DEP_4) | instskip(SKIP_2) | instid1(VALU_DEP_3)
	v_mul_f32_e32 v57, 0xbf1a4643, v15
	v_dual_mul_f32 v63, 0xbf59a7d5, v15 :: v_dual_add_f32 v2, v30, v2
	v_dual_add_f32 v14, v14, v36 :: v_dual_mul_f32 v43, 0xbf65296c, v37
	v_fmamk_f32 v59, v38, 0x3f4c4adb, v57
	v_fmac_f32_e32 v57, 0xbf4c4adb, v38
	s_delay_alu instid0(VALU_DEP_4) | instskip(NEXT) | instid1(VALU_DEP_4)
	v_fmamk_f32 v119, v38, 0x3f06c442, v63
	v_dual_fmac_f32 v63, 0xbf06c442, v38 :: v_dual_add_f32 v0, v14, v19
	v_mul_f32_e32 v48, 0xbf7ee86f, v37
	s_delay_alu instid0(VALU_DEP_4) | instskip(SKIP_1) | instid1(VALU_DEP_4)
	v_add_f32_e32 v57, v33, v57
	v_mul_f32_e32 v51, 0xbf763a35, v37
	v_add_f32_e32 v63, v33, v63
	v_add_f32_e32 v14, v122, v3
	v_mul_f32_e32 v62, 0xbf06c442, v37
	v_mul_f32_e32 v39, 0x3f6eb680, v15
	v_add_f32_e32 v1, v1, v11
	v_mul_f32_e32 v45, 0x3ee437d1, v15
	v_fmamk_f32 v58, v14, 0xbf1a4643, v55
	v_fmamk_f32 v118, v14, 0xbf59a7d5, v62
	;; [unrolled: 1-line block ×3, first 2 shown]
	v_fmac_f32_e32 v39, 0xbeb8f4ab, v38
	v_fmamk_f32 v46, v14, 0x3ee437d1, v43
	v_add_f32_e32 v58, v32, v58
	v_add_f32_e32 v0, v0, v27
	v_fma_f32 v43, 0x3ee437d1, v14, -v43
	v_dual_mul_f32 v49, 0x3dbcf732, v15 :: v_dual_fmamk_f32 v50, v14, 0x3dbcf732, v48
	v_fma_f32 v48, 0x3dbcf732, v14, -v48
	s_delay_alu instid0(VALU_DEP_4) | instskip(SKIP_3) | instid1(VALU_DEP_4)
	v_dual_add_f32 v0, v0, v3 :: v_dual_mul_f32 v3, 0xbf2c7751, v37
	v_mul_f32_e32 v37, 0xbe3c28d5, v37
	v_dual_fmamk_f32 v53, v14, 0xbe8c1d8e, v51 :: v_dual_mul_f32 v54, 0xbe8c1d8e, v15
	v_fma_f32 v51, 0xbe8c1d8e, v14, -v51
	v_fmamk_f32 v41, v14, 0x3f3d2fb0, v3
	s_delay_alu instid0(VALU_DEP_4)
	v_fmamk_f32 v120, v14, 0xbf7ba420, v37
	v_fma_f32 v3, 0x3f3d2fb0, v14, -v3
	v_fma_f32 v55, 0xbf1a4643, v14, -v55
	v_add_f32_e32 v118, v32, v118
	v_fmamk_f32 v40, v14, 0x3f6eb680, v29
	v_fma_f32 v29, 0x3f6eb680, v14, -v29
	v_fma_f32 v62, 0xbf59a7d5, v14, -v62
	v_add_f32_e32 v120, v32, v120
	v_mul_f32_e32 v42, 0x3f3d2fb0, v15
	v_mul_f32_e32 v15, 0xbf7ba420, v15
	v_fma_f32 v14, 0xbf7ba420, v14, -v37
	v_dual_mul_f32 v37, 0xbf2c7751, v121 :: v_dual_add_f32 v30, v34, v27
	v_dual_sub_f32 v27, v34, v27 :: v_dual_mul_f32 v34, 0x3f3d2fb0, v2
	v_add_f32_e32 v40, v32, v40
	v_add_f32_e32 v29, v32, v29
	;; [unrolled: 1-line block ×13, first 2 shown]
	v_fmamk_f32 v122, v38, 0x3e3c28d5, v15
	v_add_f32_e32 v14, v32, v14
	v_fmamk_f32 v32, v27, 0x3f2c7751, v34
	v_fmac_f32_e32 v34, 0xbf2c7751, v27
	v_fmamk_f32 v47, v38, 0x3f65296c, v45
	v_fmac_f32_e32 v45, 0xbf65296c, v38
	v_fmamk_f32 v56, v38, 0x3f763a35, v54
	v_dual_fmac_f32 v54, 0xbf763a35, v38 :: v_dual_add_f32 v119, v33, v119
	v_fmamk_f32 v44, v38, 0x3f2c7751, v42
	v_fmac_f32_e32 v42, 0xbf2c7751, v38
	v_dual_fmac_f32 v15, 0xbe3c28d5, v38 :: v_dual_add_f32 v34, v34, v39
	v_fmamk_f32 v52, v38, 0x3f7ee86f, v49
	v_fmac_f32_e32 v49, 0xbf7ee86f, v38
	v_add_f32_e32 v38, v33, v122
	v_dual_fmamk_f32 v122, v30, 0x3f3d2fb0, v37 :: v_dual_add_f32 v11, v33, v11
	v_add_f32_e32 v44, v33, v44
	v_add_f32_e32 v47, v33, v47
	v_add_f32_e32 v45, v33, v45
	v_add_f32_e32 v52, v33, v52
	v_add_f32_e32 v49, v33, v49
	v_add_f32_e32 v56, v33, v56
	v_add_f32_e32 v54, v33, v54
	v_add_f32_e32 v59, v33, v59
	v_dual_add_f32 v15, v33, v15 :: v_dual_add_f32 v40, v122, v40
	v_dual_add_f32 v42, v33, v42 :: v_dual_mul_f32 v33, 0xbf7ee86f, v121
	v_fma_f32 v37, 0x3f3d2fb0, v30, -v37
	v_dual_add_f32 v11, v32, v11 :: v_dual_mul_f32 v122, 0x3dbcf732, v2
	v_mul_f32_e32 v127, 0xbf1a4643, v2
	s_delay_alu instid0(VALU_DEP_3) | instskip(SKIP_1) | instid1(VALU_DEP_4)
	v_dual_fmamk_f32 v32, v30, 0x3dbcf732, v33 :: v_dual_add_f32 v29, v37, v29
	v_mul_f32_e32 v37, 0xbf4c4adb, v121
	v_fmamk_f32 v39, v27, 0x3f7ee86f, v122
	v_fma_f32 v33, 0x3dbcf732, v30, -v33
	s_delay_alu instid0(VALU_DEP_4) | instskip(SKIP_4) | instid1(VALU_DEP_4)
	v_add_f32_e32 v32, v32, v41
	v_fmac_f32_e32 v122, 0xbf7ee86f, v27
	v_fmamk_f32 v41, v30, 0xbf1a4643, v37
	v_add_f32_e32 v39, v39, v44
	v_dual_add_f32 v3, v33, v3 :: v_dual_mul_f32 v44, 0xbe3c28d5, v121
	v_add_f32_e32 v33, v122, v42
	s_delay_alu instid0(VALU_DEP_4)
	v_dual_add_f32 v41, v41, v46 :: v_dual_fmamk_f32 v42, v27, 0x3f4c4adb, v127
	v_fma_f32 v37, 0xbf1a4643, v30, -v37
	v_fmac_f32_e32 v127, 0xbf4c4adb, v27
	v_mul_f32_e32 v46, 0xbf7ba420, v2
	v_mul_f32_e32 v122, 0x3f06c442, v121
	v_add_f32_e32 v42, v42, v47
	v_fmamk_f32 v47, v30, 0xbf7ba420, v44
	v_add_f32_e32 v37, v37, v43
	v_add_f32_e32 v43, v127, v45
	v_fmamk_f32 v45, v27, 0x3e3c28d5, v46
	v_fma_f32 v44, 0xbf7ba420, v30, -v44
	v_dual_add_f32 v47, v47, v50 :: v_dual_fmac_f32 v46, 0xbe3c28d5, v27
	s_delay_alu instid0(VALU_DEP_3) | instskip(SKIP_1) | instid1(VALU_DEP_4)
	v_dual_fmamk_f32 v50, v30, 0xbf59a7d5, v122 :: v_dual_add_f32 v45, v45, v52
	v_mul_f32_e32 v52, 0xbf59a7d5, v2
	v_add_f32_e32 v44, v44, v48
	s_delay_alu instid0(VALU_DEP_4) | instskip(SKIP_1) | instid1(VALU_DEP_4)
	v_add_f32_e32 v46, v46, v49
	v_mul_f32_e32 v48, 0x3f763a35, v121
	v_dual_add_f32 v49, v50, v53 :: v_dual_fmamk_f32 v50, v27, 0xbf06c442, v52
	v_fmac_f32_e32 v52, 0x3f06c442, v27
	v_mul_f32_e32 v127, 0xbe8c1d8e, v2
	v_fma_f32 v53, 0xbf59a7d5, v30, -v122
	v_fmamk_f32 v122, v30, 0xbe8c1d8e, v48
	v_add_f32_e32 v50, v50, v56
	v_add_f32_e32 v52, v52, v54
	v_fmamk_f32 v54, v27, 0xbf763a35, v127
	v_dual_mul_f32 v56, 0x3f65296c, v121 :: v_dual_add_f32 v51, v53, v51
	v_add_f32_e32 v53, v122, v58
	v_fma_f32 v48, 0xbe8c1d8e, v30, -v48
	v_mul_f32_e32 v58, 0x3ee437d1, v2
	v_add_f32_e32 v54, v54, v59
	v_fmamk_f32 v59, v30, 0x3ee437d1, v56
	v_mul_f32_e32 v121, 0x3eb8f4ab, v121
	v_fma_f32 v56, 0x3ee437d1, v30, -v56
	v_dual_add_f32 v48, v48, v55 :: v_dual_fmamk_f32 v55, v27, 0xbf65296c, v58
	s_delay_alu instid0(VALU_DEP_4) | instskip(NEXT) | instid1(VALU_DEP_4)
	v_dual_add_f32 v59, v59, v118 :: v_dual_fmac_f32 v58, 0x3f65296c, v27
	v_fmamk_f32 v118, v30, 0x3f6eb680, v121
	s_delay_alu instid0(VALU_DEP_4) | instskip(SKIP_4) | instid1(VALU_DEP_4)
	v_add_f32_e32 v56, v56, v62
	v_sub_f32_e32 v62, v31, v10
	v_dual_add_f32 v55, v55, v119 :: v_dual_mul_f32 v2, 0x3f6eb680, v2
	v_add_f32_e32 v58, v58, v63
	v_add_f32_e32 v63, v118, v120
	v_dual_add_f32 v119, v35, v19 :: v_dual_mul_f32 v120, 0xbf65296c, v62
	v_dual_add_f32 v10, v31, v10 :: v_dual_fmac_f32 v127, 0x3f763a35, v27
	v_fmamk_f32 v118, v27, 0xbeb8f4ab, v2
	v_fma_f32 v30, 0x3f6eb680, v30, -v121
	v_fmac_f32_e32 v2, 0x3eb8f4ab, v27
	v_sub_f32_e32 v19, v35, v19
	v_fmamk_f32 v27, v119, 0x3ee437d1, v120
	v_mul_f32_e32 v31, 0x3ee437d1, v10
	v_add_f32_e32 v35, v118, v38
	v_add_f32_e32 v14, v30, v14
	s_delay_alu instid0(VALU_DEP_4) | instskip(NEXT) | instid1(VALU_DEP_4)
	v_dual_add_f32 v2, v2, v15 :: v_dual_add_f32 v15, v27, v40
	v_fmamk_f32 v27, v19, 0x3f65296c, v31
	v_mul_f32_e32 v30, 0xbf4c4adb, v62
	v_fma_f32 v38, 0x3ee437d1, v119, -v120
	v_fmac_f32_e32 v31, 0xbf65296c, v19
	s_delay_alu instid0(VALU_DEP_4) | instskip(NEXT) | instid1(VALU_DEP_4)
	v_dual_mul_f32 v40, 0xbf1a4643, v10 :: v_dual_add_f32 v11, v27, v11
	v_fmamk_f32 v27, v119, 0xbf1a4643, v30
	s_delay_alu instid0(VALU_DEP_4) | instskip(NEXT) | instid1(VALU_DEP_4)
	v_add_f32_e32 v29, v38, v29
	v_add_f32_e32 v31, v31, v34
	s_delay_alu instid0(VALU_DEP_4) | instskip(SKIP_3) | instid1(VALU_DEP_4)
	v_fmamk_f32 v34, v19, 0x3f4c4adb, v40
	v_mul_f32_e32 v38, 0x3e3c28d5, v62
	v_fma_f32 v30, 0xbf1a4643, v119, -v30
	v_dual_fmac_f32 v40, 0xbf4c4adb, v19 :: v_dual_add_f32 v27, v27, v32
	v_add_f32_e32 v32, v34, v39
	s_delay_alu instid0(VALU_DEP_4) | instskip(NEXT) | instid1(VALU_DEP_3)
	v_dual_fmamk_f32 v34, v119, 0xbf7ba420, v38 :: v_dual_mul_f32 v39, 0xbf7ba420, v10
	v_dual_add_f32 v3, v30, v3 :: v_dual_add_f32 v30, v40, v33
	s_delay_alu instid0(VALU_DEP_2) | instskip(NEXT) | instid1(VALU_DEP_3)
	v_dual_mul_f32 v33, 0x3f763a35, v62 :: v_dual_add_f32 v34, v34, v41
	v_fmamk_f32 v40, v19, 0xbe3c28d5, v39
	v_fma_f32 v38, 0xbf7ba420, v119, -v38
	v_fmac_f32_e32 v39, 0x3e3c28d5, v19
	s_delay_alu instid0(VALU_DEP_4) | instskip(NEXT) | instid1(VALU_DEP_3)
	v_dual_fmamk_f32 v41, v119, 0xbe8c1d8e, v33 :: v_dual_mul_f32 v118, 0xbe8c1d8e, v10
	v_dual_add_f32 v40, v40, v42 :: v_dual_add_f32 v37, v38, v37
	s_delay_alu instid0(VALU_DEP_3) | instskip(NEXT) | instid1(VALU_DEP_3)
	v_add_f32_e32 v38, v39, v43
	v_add_f32_e32 v39, v41, v47
	s_delay_alu instid0(VALU_DEP_4)
	v_fmamk_f32 v41, v19, 0xbf763a35, v118
	v_mul_f32_e32 v42, 0x3f2c7751, v62
	v_fma_f32 v33, 0xbe8c1d8e, v119, -v33
	v_fmac_f32_e32 v118, 0x3f763a35, v19
	v_mul_f32_e32 v43, 0x3f3d2fb0, v10
	v_add_f32_e32 v41, v41, v45
	v_fmamk_f32 v45, v119, 0x3f3d2fb0, v42
	s_delay_alu instid0(VALU_DEP_4) | instskip(NEXT) | instid1(VALU_DEP_4)
	v_dual_add_f32 v33, v33, v44 :: v_dual_add_f32 v44, v118, v46
	v_fmamk_f32 v46, v19, 0xbf2c7751, v43
	v_mul_f32_e32 v47, 0xbeb8f4ab, v62
	v_fma_f32 v42, 0x3f3d2fb0, v119, -v42
	v_add_f32_e32 v45, v45, v49
	s_delay_alu instid0(VALU_DEP_4) | instskip(NEXT) | instid1(VALU_DEP_4)
	v_dual_fmac_f32 v43, 0x3f2c7751, v19 :: v_dual_add_f32 v46, v46, v50
	v_dual_fmamk_f32 v49, v119, 0x3f6eb680, v47 :: v_dual_mul_f32 v50, 0x3f6eb680, v10
	s_delay_alu instid0(VALU_DEP_4) | instskip(SKIP_1) | instid1(VALU_DEP_4)
	v_dual_add_f32 v42, v42, v51 :: v_dual_mul_f32 v51, 0xbf7ee86f, v62
	v_add_f32_e32 v57, v127, v57
	v_add_f32_e32 v43, v43, v52
	s_delay_alu instid0(VALU_DEP_4) | instskip(SKIP_3) | instid1(VALU_DEP_3)
	v_dual_add_f32 v49, v49, v53 :: v_dual_fmamk_f32 v52, v19, 0x3eb8f4ab, v50
	v_fma_f32 v47, 0x3f6eb680, v119, -v47
	v_fmac_f32_e32 v50, 0xbeb8f4ab, v19
	v_dual_fmamk_f32 v53, v119, 0x3dbcf732, v51 :: v_dual_mul_f32 v118, 0x3dbcf732, v10
	v_dual_mul_f32 v10, 0xbf59a7d5, v10 :: v_dual_add_f32 v47, v47, v48
	s_delay_alu instid0(VALU_DEP_3) | instskip(NEXT) | instid1(VALU_DEP_3)
	v_add_f32_e32 v48, v50, v57
	v_dual_add_f32 v50, v53, v59 :: v_dual_fmamk_f32 v53, v19, 0x3f7ee86f, v118
	v_fma_f32 v51, 0x3dbcf732, v119, -v51
	v_fmac_f32_e32 v118, 0xbf7ee86f, v19
	v_add_f32_e32 v52, v52, v54
	v_mul_f32_e32 v54, 0xbf06c442, v62
	v_fmamk_f32 v57, v19, 0x3f06c442, v10
	s_delay_alu instid0(VALU_DEP_4) | instskip(SKIP_4) | instid1(VALU_DEP_4)
	v_dual_add_f32 v51, v51, v56 :: v_dual_add_f32 v56, v118, v58
	v_sub_f32_e32 v58, v26, v8
	v_dual_add_f32 v8, v26, v8 :: v_dual_add_f32 v53, v53, v55
	v_fmamk_f32 v55, v119, 0xbf59a7d5, v54
	v_add_f32_e32 v35, v57, v35
	v_dual_add_f32 v57, v28, v36 :: v_dual_mul_f32 v26, 0xbf7ee86f, v58
	v_fma_f32 v54, 0xbf59a7d5, v119, -v54
	v_dual_fmac_f32 v10, 0xbf06c442, v19 :: v_dual_sub_f32 v19, v28, v36
	v_mul_f32_e32 v28, 0x3dbcf732, v8
	s_delay_alu instid0(VALU_DEP_4) | instskip(NEXT) | instid1(VALU_DEP_4)
	v_fmamk_f32 v36, v57, 0x3dbcf732, v26
	v_add_f32_e32 v14, v54, v14
	s_delay_alu instid0(VALU_DEP_4) | instskip(SKIP_1) | instid1(VALU_DEP_4)
	v_add_f32_e32 v2, v10, v2
	v_mul_f32_e32 v10, 0xbe3c28d5, v58
	v_dual_fmamk_f32 v54, v19, 0x3f7ee86f, v28 :: v_dual_add_f32 v15, v36, v15
	v_fma_f32 v26, 0x3dbcf732, v57, -v26
	v_fmac_f32_e32 v28, 0xbf7ee86f, v19
	s_delay_alu instid0(VALU_DEP_3) | instskip(SKIP_1) | instid1(VALU_DEP_4)
	v_dual_fmamk_f32 v36, v57, 0xbf7ba420, v10 :: v_dual_add_f32 v11, v54, v11
	v_mul_f32_e32 v54, 0xbf7ba420, v8
	v_add_f32_e32 v26, v26, v29
	s_delay_alu instid0(VALU_DEP_4) | instskip(NEXT) | instid1(VALU_DEP_4)
	v_add_f32_e32 v28, v28, v31
	v_add_f32_e32 v27, v36, v27
	v_mul_f32_e32 v29, 0x3f763a35, v58
	v_fmamk_f32 v31, v19, 0x3e3c28d5, v54
	v_fma_f32 v10, 0xbf7ba420, v57, -v10
	v_fmac_f32_e32 v54, 0xbe3c28d5, v19
	s_delay_alu instid0(VALU_DEP_4) | instskip(NEXT) | instid1(VALU_DEP_4)
	v_dual_mul_f32 v36, 0xbe8c1d8e, v8 :: v_dual_fmamk_f32 v59, v57, 0xbe8c1d8e, v29
	v_add_f32_e32 v31, v31, v32
	s_delay_alu instid0(VALU_DEP_4) | instskip(NEXT) | instid1(VALU_DEP_4)
	v_add_f32_e32 v3, v10, v3
	v_add_f32_e32 v10, v54, v30
	s_delay_alu instid0(VALU_DEP_4)
	v_fmamk_f32 v30, v19, 0xbf763a35, v36
	v_add_f32_e32 v32, v59, v34
	v_mul_f32_e32 v34, 0x3eb8f4ab, v58
	v_fma_f32 v29, 0xbe8c1d8e, v57, -v29
	v_fmac_f32_e32 v36, 0x3f763a35, v19
	v_add_f32_e32 v30, v30, v40
	v_mul_f32_e32 v40, 0x3f6eb680, v8
	v_fmamk_f32 v54, v57, 0x3f6eb680, v34
	s_delay_alu instid0(VALU_DEP_4) | instskip(SKIP_1) | instid1(VALU_DEP_3)
	v_dual_add_f32 v29, v29, v37 :: v_dual_add_f32 v36, v36, v38
	v_mul_f32_e32 v37, 0xbf65296c, v58
	v_dual_fmamk_f32 v38, v19, 0xbeb8f4ab, v40 :: v_dual_add_f32 v39, v54, v39
	v_fma_f32 v34, 0x3f6eb680, v57, -v34
	v_fmac_f32_e32 v40, 0x3eb8f4ab, v19
	s_delay_alu instid0(VALU_DEP_4) | instskip(NEXT) | instid1(VALU_DEP_4)
	v_fmamk_f32 v54, v57, 0x3ee437d1, v37
	v_dual_add_f32 v38, v38, v41 :: v_dual_mul_f32 v41, 0x3ee437d1, v8
	s_delay_alu instid0(VALU_DEP_3) | instskip(NEXT) | instid1(VALU_DEP_3)
	v_dual_add_f32 v33, v34, v33 :: v_dual_add_f32 v34, v40, v44
	v_add_f32_e32 v40, v54, v45
	v_mul_f32_e32 v44, 0xbf06c442, v58
	s_delay_alu instid0(VALU_DEP_4)
	v_fmamk_f32 v45, v19, 0x3f65296c, v41
	v_fma_f32 v37, 0x3ee437d1, v57, -v37
	v_mul_f32_e32 v54, 0xbf59a7d5, v8
	v_fmac_f32_e32 v41, 0xbf65296c, v19
	v_fmamk_f32 v59, v57, 0xbf59a7d5, v44
	v_add_f32_e32 v45, v45, v46
	s_delay_alu instid0(VALU_DEP_4) | instskip(SKIP_3) | instid1(VALU_DEP_4)
	v_dual_add_f32 v37, v37, v42 :: v_dual_fmamk_f32 v42, v19, 0x3f06c442, v54
	v_mul_f32_e32 v46, 0x3f4c4adb, v58
	v_fma_f32 v44, 0xbf59a7d5, v57, -v44
	v_fmac_f32_e32 v54, 0xbf06c442, v19
	v_dual_add_f32 v55, v55, v63 :: v_dual_add_f32 v42, v42, v52
	s_delay_alu instid0(VALU_DEP_4) | instskip(NEXT) | instid1(VALU_DEP_3)
	v_fmamk_f32 v52, v57, 0xbf1a4643, v46
	v_dual_add_f32 v44, v44, v47 :: v_dual_add_f32 v47, v54, v48
	v_dual_mul_f32 v48, 0x3f2c7751, v58 :: v_dual_add_f32 v41, v41, v43
	v_add_f32_e32 v43, v59, v49
	s_delay_alu instid0(VALU_DEP_4) | instskip(SKIP_1) | instid1(VALU_DEP_4)
	v_dual_mul_f32 v49, 0xbf1a4643, v8 :: v_dual_add_f32 v50, v52, v50
	v_fma_f32 v46, 0xbf1a4643, v57, -v46
	v_fmamk_f32 v52, v57, 0x3f3d2fb0, v48
	v_mul_f32_e32 v8, 0x3f3d2fb0, v8
	s_delay_alu instid0(VALU_DEP_4)
	v_fmamk_f32 v54, v19, 0xbf4c4adb, v49
	v_fmac_f32_e32 v49, 0x3f4c4adb, v19
	v_add_f32_e32 v46, v46, v51
	v_dual_add_f32 v51, v52, v55 :: v_dual_sub_f32 v52, v23, v9
	v_add_f32_e32 v9, v23, v9
	v_dual_add_f32 v53, v54, v53 :: v_dual_fmamk_f32 v54, v19, 0xbf2c7751, v8
	v_fma_f32 v48, 0x3f3d2fb0, v57, -v48
	v_add_f32_e32 v23, v25, v13
	v_mul_f32_e32 v55, 0xbf763a35, v52
	v_dual_fmac_f32 v8, 0x3f2c7751, v19 :: v_dual_sub_f32 v13, v25, v13
	v_mul_f32_e32 v19, 0xbe8c1d8e, v9
	v_add_f32_e32 v25, v54, v35
	s_delay_alu instid0(VALU_DEP_4) | instskip(NEXT) | instid1(VALU_DEP_4)
	v_dual_fmamk_f32 v35, v23, 0xbe8c1d8e, v55 :: v_dual_add_f32 v14, v48, v14
	v_add_f32_e32 v2, v8, v2
	s_delay_alu instid0(VALU_DEP_4) | instskip(SKIP_4) | instid1(VALU_DEP_4)
	v_fmamk_f32 v8, v13, 0x3f763a35, v19
	v_mul_f32_e32 v48, 0x3f06c442, v52
	v_fmac_f32_e32 v19, 0xbf763a35, v13
	v_add_f32_e32 v15, v35, v15
	v_fma_f32 v35, 0xbe8c1d8e, v23, -v55
	v_dual_add_f32 v8, v8, v11 :: v_dual_fmamk_f32 v11, v23, 0xbf59a7d5, v48
	s_delay_alu instid0(VALU_DEP_4) | instskip(SKIP_1) | instid1(VALU_DEP_4)
	v_dual_mul_f32 v54, 0xbf59a7d5, v9 :: v_dual_add_f32 v19, v19, v28
	v_mul_f32_e32 v28, 0x3f2c7751, v52
	v_add_f32_e32 v26, v35, v26
	s_delay_alu instid0(VALU_DEP_4) | instskip(NEXT) | instid1(VALU_DEP_4)
	v_add_f32_e32 v11, v11, v27
	v_fmamk_f32 v27, v13, 0xbf06c442, v54
	v_fma_f32 v35, 0xbf59a7d5, v23, -v48
	v_dual_fmamk_f32 v48, v23, 0x3f3d2fb0, v28 :: v_dual_mul_f32 v55, 0x3f3d2fb0, v9
	s_delay_alu instid0(VALU_DEP_3) | instskip(NEXT) | instid1(VALU_DEP_3)
	v_dual_fmac_f32 v54, 0x3f06c442, v13 :: v_dual_add_f32 v27, v27, v31
	v_add_f32_e32 v3, v35, v3
	s_delay_alu instid0(VALU_DEP_3)
	v_dual_add_f32 v31, v48, v32 :: v_dual_fmamk_f32 v32, v13, 0xbf2c7751, v55
	v_mul_f32_e32 v35, 0xbf65296c, v52
	v_fma_f32 v28, 0x3f3d2fb0, v23, -v28
	v_fmac_f32_e32 v55, 0x3f2c7751, v13
	v_mul_f32_e32 v48, 0x3ee437d1, v9
	v_add_f32_e32 v10, v54, v10
	v_add_f32_e32 v30, v32, v30
	v_fmamk_f32 v32, v23, 0x3ee437d1, v35
	v_dual_add_f32 v28, v28, v29 :: v_dual_add_f32 v29, v55, v36
	v_fmamk_f32 v36, v13, 0x3f65296c, v48
	v_mul_f32_e32 v54, 0xbe3c28d5, v52
	v_fma_f32 v35, 0x3ee437d1, v23, -v35
	v_add_f32_e32 v32, v32, v39
	v_fmac_f32_e32 v48, 0xbf65296c, v13
	v_add_f32_e32 v36, v36, v38
	v_dual_fmamk_f32 v38, v23, 0xbf7ba420, v54 :: v_dual_mul_f32 v39, 0xbf7ba420, v9
	v_add_f32_e32 v33, v35, v33
	s_delay_alu instid0(VALU_DEP_4) | instskip(NEXT) | instid1(VALU_DEP_3)
	v_dual_mul_f32 v35, 0x3f7ee86f, v52 :: v_dual_add_f32 v34, v48, v34
	v_add_f32_e32 v38, v38, v40
	s_delay_alu instid0(VALU_DEP_4) | instskip(SKIP_3) | instid1(VALU_DEP_4)
	v_fmamk_f32 v40, v13, 0x3e3c28d5, v39
	v_fma_f32 v48, 0xbf7ba420, v23, -v54
	v_fmac_f32_e32 v39, 0xbe3c28d5, v13
	v_dual_fmamk_f32 v54, v23, 0x3dbcf732, v35 :: v_dual_mul_f32 v55, 0x3dbcf732, v9
	v_dual_add_f32 v40, v40, v45 :: v_dual_mul_f32 v45, 0xbeb8f4ab, v52
	s_delay_alu instid0(VALU_DEP_3) | instskip(NEXT) | instid1(VALU_DEP_3)
	v_add_f32_e32 v39, v39, v41
	v_add_f32_e32 v41, v54, v43
	s_delay_alu instid0(VALU_DEP_4)
	v_fmamk_f32 v43, v13, 0xbf7ee86f, v55
	v_add_f32_e32 v37, v48, v37
	v_fma_f32 v35, 0x3dbcf732, v23, -v35
	v_mul_f32_e32 v48, 0x3f6eb680, v9
	v_mul_f32_e32 v52, 0xbf4c4adb, v52
	v_add_f32_e32 v42, v43, v42
	v_fmamk_f32 v43, v23, 0x3f6eb680, v45
	v_fma_f32 v45, 0x3f6eb680, v23, -v45
	v_add_f32_e32 v49, v49, v56
	v_dual_add_f32 v35, v35, v44 :: v_dual_fmamk_f32 v44, v13, 0x3eb8f4ab, v48
	s_delay_alu instid0(VALU_DEP_4) | instskip(NEXT) | instid1(VALU_DEP_4)
	v_dual_add_f32 v43, v43, v50 :: v_dual_fmac_f32 v48, 0xbeb8f4ab, v13
	v_dual_fmamk_f32 v50, v23, 0xbf1a4643, v52 :: v_dual_add_f32 v45, v45, v46
	v_sub_f32_e32 v46, v22, v12
	s_delay_alu instid0(VALU_DEP_4) | instskip(SKIP_1) | instid1(VALU_DEP_4)
	v_add_f32_e32 v44, v44, v53
	v_mul_f32_e32 v9, 0xbf1a4643, v9
	v_dual_add_f32 v48, v48, v49 :: v_dual_add_f32 v49, v50, v51
	v_add_f32_e32 v51, v24, v18
	v_dual_mul_f32 v53, 0xbf4c4adb, v46 :: v_dual_add_f32 v12, v22, v12
	v_fmac_f32_e32 v55, 0x3f7ee86f, v13
	v_fmamk_f32 v50, v13, 0x3f4c4adb, v9
	v_fma_f32 v22, 0xbf1a4643, v23, -v52
	v_fmac_f32_e32 v9, 0xbf4c4adb, v13
	v_dual_sub_f32 v13, v24, v18 :: v_dual_fmamk_f32 v18, v51, 0xbf1a4643, v53
	s_delay_alu instid0(VALU_DEP_4) | instskip(NEXT) | instid1(VALU_DEP_3)
	v_dual_mul_f32 v23, 0xbf1a4643, v12 :: v_dual_add_f32 v24, v50, v25
	v_add_f32_e32 v2, v9, v2
	v_add_f32_e32 v14, v22, v14
	s_delay_alu instid0(VALU_DEP_4) | instskip(NEXT) | instid1(VALU_DEP_4)
	v_add_f32_e32 v9, v18, v15
	v_fmamk_f32 v15, v13, 0x3f4c4adb, v23
	v_mul_f32_e32 v18, 0x3f763a35, v46
	v_fma_f32 v22, 0xbf1a4643, v51, -v53
	v_fmac_f32_e32 v23, 0xbf4c4adb, v13
	v_mul_f32_e32 v25, 0xbe8c1d8e, v12
	v_add_f32_e32 v8, v15, v8
	s_delay_alu instid0(VALU_DEP_4) | instskip(NEXT) | instid1(VALU_DEP_4)
	v_dual_fmamk_f32 v15, v51, 0xbe8c1d8e, v18 :: v_dual_add_f32 v22, v22, v26
	v_add_f32_e32 v19, v23, v19
	s_delay_alu instid0(VALU_DEP_4) | instskip(NEXT) | instid1(VALU_DEP_3)
	v_fmamk_f32 v23, v13, 0xbf763a35, v25
	v_dual_mul_f32 v26, 0xbeb8f4ab, v46 :: v_dual_add_f32 v11, v15, v11
	v_fma_f32 v15, 0xbe8c1d8e, v51, -v18
	s_delay_alu instid0(VALU_DEP_3) | instskip(NEXT) | instid1(VALU_DEP_3)
	v_dual_fmac_f32 v25, 0x3f763a35, v13 :: v_dual_add_f32 v18, v23, v27
	v_fmamk_f32 v23, v51, 0x3f6eb680, v26
	v_mul_f32_e32 v27, 0x3f6eb680, v12
	s_delay_alu instid0(VALU_DEP_4) | instskip(SKIP_1) | instid1(VALU_DEP_4)
	v_add_f32_e32 v3, v15, v3
	v_mul_f32_e32 v15, 0xbf06c442, v46
	v_dual_add_f32 v10, v25, v10 :: v_dual_add_f32 v23, v23, v31
	s_delay_alu instid0(VALU_DEP_4) | instskip(SKIP_3) | instid1(VALU_DEP_3)
	v_fmamk_f32 v25, v13, 0x3eb8f4ab, v27
	v_fma_f32 v26, 0x3f6eb680, v51, -v26
	v_fmac_f32_e32 v27, 0xbeb8f4ab, v13
	v_dual_fmamk_f32 v31, v51, 0xbf59a7d5, v15 :: v_dual_mul_f32 v50, 0xbf59a7d5, v12
	v_dual_add_f32 v25, v25, v30 :: v_dual_add_f32 v26, v26, v28
	s_delay_alu instid0(VALU_DEP_3) | instskip(NEXT) | instid1(VALU_DEP_3)
	v_add_f32_e32 v27, v27, v29
	v_dual_add_f32 v28, v31, v32 :: v_dual_fmamk_f32 v29, v13, 0x3f06c442, v50
	v_mul_f32_e32 v30, 0x3f7ee86f, v46
	v_fma_f32 v15, 0xbf59a7d5, v51, -v15
	v_fmac_f32_e32 v50, 0xbf06c442, v13
	v_mul_f32_e32 v31, 0x3dbcf732, v12
	s_delay_alu instid0(VALU_DEP_4) | instskip(NEXT) | instid1(VALU_DEP_4)
	v_dual_add_f32 v29, v29, v36 :: v_dual_fmamk_f32 v32, v51, 0x3dbcf732, v30
	v_add_f32_e32 v15, v15, v33
	s_delay_alu instid0(VALU_DEP_3) | instskip(SKIP_3) | instid1(VALU_DEP_4)
	v_dual_add_f32 v33, v50, v34 :: v_dual_fmamk_f32 v34, v13, 0xbf7ee86f, v31
	v_mul_f32_e32 v36, 0xbf2c7751, v46
	v_fma_f32 v30, 0x3dbcf732, v51, -v30
	v_dual_add_f32 v32, v32, v38 :: v_dual_fmac_f32 v31, 0x3f7ee86f, v13
	v_add_f32_e32 v34, v34, v40
	s_delay_alu instid0(VALU_DEP_4) | instskip(SKIP_3) | instid1(VALU_DEP_4)
	v_fmamk_f32 v38, v51, 0x3f3d2fb0, v36
	v_mul_f32_e32 v40, 0x3f3d2fb0, v12
	v_dual_add_f32 v30, v30, v37 :: v_dual_mul_f32 v37, 0xbe3c28d5, v46
	v_add_f32_e32 v47, v55, v47
	v_dual_add_f32 v31, v31, v39 :: v_dual_add_f32 v38, v38, v41
	s_delay_alu instid0(VALU_DEP_4) | instskip(SKIP_3) | instid1(VALU_DEP_3)
	v_fmamk_f32 v39, v13, 0x3f2c7751, v40
	v_fma_f32 v36, 0x3f3d2fb0, v51, -v36
	v_fmac_f32_e32 v40, 0xbf2c7751, v13
	v_dual_fmamk_f32 v41, v51, 0xbf7ba420, v37 :: v_dual_mul_f32 v50, 0xbf7ba420, v12
	v_dual_mul_f32 v12, 0x3ee437d1, v12 :: v_dual_add_f32 v35, v36, v35
	s_delay_alu instid0(VALU_DEP_3) | instskip(NEXT) | instid1(VALU_DEP_3)
	v_add_f32_e32 v36, v40, v47
	v_add_f32_e32 v40, v41, v43
	s_delay_alu instid0(VALU_DEP_4)
	v_fmamk_f32 v41, v13, 0x3e3c28d5, v50
	v_add_f32_e32 v39, v39, v42
	v_mul_f32_e32 v42, 0x3f65296c, v46
	v_sub_f32_e32 v46, v21, v16
	v_add_f32_e32 v16, v21, v16
	v_add_f32_e32 v41, v41, v44
	v_fmamk_f32 v44, v13, 0xbf65296c, v12
	v_fmac_f32_e32 v50, 0xbe3c28d5, v13
	v_mul_f32_e32 v21, 0xbf06c442, v46
	v_fmamk_f32 v43, v51, 0x3ee437d1, v42
	v_fma_f32 v42, 0x3ee437d1, v51, -v42
	v_add_f32_e32 v24, v44, v24
	v_add_f32_e32 v44, v20, v17
	v_fmac_f32_e32 v12, 0x3f65296c, v13
	v_sub_f32_e32 v13, v20, v17
	v_dual_mul_f32 v17, 0xbf59a7d5, v16 :: v_dual_add_f32 v14, v42, v14
	s_delay_alu instid0(VALU_DEP_4) | instskip(NEXT) | instid1(VALU_DEP_4)
	v_fmamk_f32 v20, v44, 0xbf59a7d5, v21
	v_add_f32_e32 v2, v12, v2
	v_mul_f32_e32 v12, 0x3f65296c, v46
	s_delay_alu instid0(VALU_DEP_4) | instskip(SKIP_3) | instid1(VALU_DEP_4)
	v_fmamk_f32 v42, v13, 0x3f06c442, v17
	v_fmac_f32_e32 v17, 0xbf06c442, v13
	v_add_f32_e32 v9, v20, v9
	v_fma_f32 v20, 0xbf59a7d5, v44, -v21
	v_dual_fmamk_f32 v21, v44, 0x3ee437d1, v12 :: v_dual_add_f32 v8, v42, v8
	s_delay_alu instid0(VALU_DEP_4) | instskip(NEXT) | instid1(VALU_DEP_3)
	v_dual_mul_f32 v42, 0x3ee437d1, v16 :: v_dual_add_f32 v17, v17, v19
	v_add_f32_e32 v20, v20, v22
	v_mul_f32_e32 v19, 0xbf7ee86f, v46
	v_fma_f32 v12, 0x3ee437d1, v44, -v12
	v_dual_mul_f32 v22, 0x3dbcf732, v16 :: v_dual_add_f32 v11, v21, v11
	v_fmamk_f32 v21, v13, 0xbf65296c, v42
	s_delay_alu instid0(VALU_DEP_4) | instskip(NEXT) | instid1(VALU_DEP_3)
	v_fmamk_f32 v47, v44, 0x3dbcf732, v19
	v_dual_add_f32 v12, v12, v3 :: v_dual_fmamk_f32 v3, v13, 0x3f7ee86f, v22
	v_fmac_f32_e32 v42, 0x3f65296c, v13
	s_delay_alu instid0(VALU_DEP_3)
	v_dual_add_f32 v18, v21, v18 :: v_dual_add_f32 v21, v47, v23
	v_mul_f32_e32 v23, 0x3f4c4adb, v46
	v_fma_f32 v19, 0x3dbcf732, v44, -v19
	v_fmac_f32_e32 v22, 0xbf7ee86f, v13
	v_add_f32_e32 v25, v3, v25
	v_dual_mul_f32 v3, 0xbf1a4643, v16 :: v_dual_add_f32 v10, v42, v10
	s_delay_alu instid0(VALU_DEP_4) | instskip(NEXT) | instid1(VALU_DEP_4)
	v_dual_fmamk_f32 v42, v44, 0xbf1a4643, v23 :: v_dual_add_f32 v19, v19, v26
	v_add_f32_e32 v22, v22, v27
	v_mul_f32_e32 v26, 0xbeb8f4ab, v46
	s_delay_alu instid0(VALU_DEP_3) | instskip(SKIP_2) | instid1(VALU_DEP_3)
	v_dual_fmamk_f32 v27, v13, 0xbf4c4adb, v3 :: v_dual_add_f32 v28, v42, v28
	v_fma_f32 v23, 0xbf1a4643, v44, -v23
	v_fmac_f32_e32 v3, 0x3f4c4adb, v13
	v_dual_fmamk_f32 v42, v44, 0x3f6eb680, v26 :: v_dual_add_f32 v27, v27, v29
	v_mul_f32_e32 v29, 0x3f6eb680, v16
	s_delay_alu instid0(VALU_DEP_4) | instskip(NEXT) | instid1(VALU_DEP_3)
	v_add_f32_e32 v15, v23, v15
	v_dual_add_f32 v23, v3, v33 :: v_dual_add_f32 v42, v42, v32
	v_mul_f32_e32 v3, 0xbe3c28d5, v46
	s_delay_alu instid0(VALU_DEP_4)
	v_fmamk_f32 v32, v13, 0x3eb8f4ab, v29
	v_fma_f32 v26, 0x3f6eb680, v44, -v26
	v_mul_f32_e32 v33, 0xbf7ba420, v16
	v_fmac_f32_e32 v29, 0xbeb8f4ab, v13
	v_fmamk_f32 v47, v44, 0xbf7ba420, v3
	v_add_f32_e32 v34, v32, v34
	v_add_f32_e32 v26, v26, v30
	v_fmamk_f32 v30, v13, 0x3e3c28d5, v33
	v_mul_f32_e32 v32, 0x3f2c7751, v46
	v_fma_f32 v3, 0xbf7ba420, v44, -v3
	v_fma_f32 v37, 0xbf7ba420, v51, -v37
	s_delay_alu instid0(VALU_DEP_4) | instskip(NEXT) | instid1(VALU_DEP_4)
	v_dual_add_f32 v43, v43, v49 :: v_dual_add_f32 v30, v30, v39
	v_fmamk_f32 v39, v44, 0x3f3d2fb0, v32
	s_delay_alu instid0(VALU_DEP_4)
	v_add_f32_e32 v35, v3, v35
	v_mul_f32_e32 v3, 0xbf763a35, v46
	v_add_f32_e32 v29, v29, v31
	v_add_f32_e32 v31, v47, v38
	v_fmac_f32_e32 v33, 0xbe3c28d5, v13
	v_mul_f32_e32 v38, 0x3f3d2fb0, v16
	v_dual_add_f32 v39, v39, v40 :: v_dual_fmamk_f32 v40, v44, 0xbe8c1d8e, v3
	v_add_f32_e32 v37, v37, v45
	s_delay_alu instid0(VALU_DEP_4) | instskip(NEXT) | instid1(VALU_DEP_4)
	v_add_f32_e32 v36, v33, v36
	v_fmamk_f32 v33, v13, 0xbf2c7751, v38
	v_add_f32_e32 v45, v50, v48
	v_fma_f32 v32, 0x3f3d2fb0, v44, -v32
	v_fmac_f32_e32 v38, 0x3f2c7751, v13
	v_add_f32_e32 v40, v40, v43
	v_sub_f32_e32 v43, v6, v7
	v_fma_f32 v3, 0xbe8c1d8e, v44, -v3
	v_add_f32_e32 v44, v6, v7
	v_mul_f32_e32 v16, 0xbe8c1d8e, v16
	v_add_f32_e32 v38, v38, v45
	v_dual_add_f32 v45, v4, v5 :: v_dual_mul_f32 v6, 0xbe3c28d5, v43
	v_sub_f32_e32 v46, v4, v5
	v_dual_mul_f32 v4, 0xbf7ba420, v44 :: v_dual_add_f32 v37, v32, v37
	v_fmamk_f32 v32, v13, 0x3f763a35, v16
	v_fmac_f32_e32 v16, 0xbf763a35, v13
	v_dual_fmamk_f32 v5, v45, 0xbf7ba420, v6 :: v_dual_add_f32 v48, v3, v14
	s_delay_alu instid0(VALU_DEP_4) | instskip(SKIP_1) | instid1(VALU_DEP_3)
	v_fmamk_f32 v3, v46, 0x3e3c28d5, v4
	v_mul_f32_e32 v7, 0x3eb8f4ab, v43
	v_dual_add_f32 v49, v16, v2 :: v_dual_add_f32 v2, v5, v9
	v_fma_f32 v5, 0xbf7ba420, v45, -v6
	s_delay_alu instid0(VALU_DEP_4) | instskip(NEXT) | instid1(VALU_DEP_4)
	v_dual_fmac_f32 v4, 0xbe3c28d5, v46 :: v_dual_add_f32 v3, v3, v8
	v_fmamk_f32 v6, v45, 0x3f6eb680, v7
	v_mul_f32_e32 v8, 0x3f6eb680, v44
	v_mul_f32_e32 v9, 0xbf06c442, v43
	v_add_f32_e32 v41, v33, v41
	v_add_f32_e32 v47, v32, v24
	v_dual_add_f32 v32, v5, v20 :: v_dual_add_f32 v33, v4, v17
	v_add_f32_e32 v4, v6, v11
	v_fmamk_f32 v5, v46, 0xbeb8f4ab, v8
	v_fmac_f32_e32 v8, 0x3eb8f4ab, v46
	v_fmamk_f32 v11, v45, 0xbf59a7d5, v9
	v_mul_f32_e32 v13, 0xbf59a7d5, v44
	v_fma_f32 v6, 0x3f6eb680, v45, -v7
	s_delay_alu instid0(VALU_DEP_4) | instskip(NEXT) | instid1(VALU_DEP_4)
	v_dual_mul_f32 v14, 0x3f2c7751, v43 :: v_dual_add_f32 v7, v8, v10
	v_add_f32_e32 v8, v11, v21
	s_delay_alu instid0(VALU_DEP_4)
	v_fmamk_f32 v10, v46, 0x3f06c442, v13
	v_fma_f32 v11, 0xbf59a7d5, v45, -v9
	v_fmac_f32_e32 v13, 0xbf06c442, v46
	v_mul_f32_e32 v16, 0x3f3d2fb0, v44
	v_mul_f32_e32 v17, 0xbf4c4adb, v43
	v_dual_add_f32 v5, v5, v18 :: v_dual_add_f32 v6, v6, v12
	v_dual_add_f32 v9, v10, v25 :: v_dual_fmamk_f32 v12, v45, 0x3f3d2fb0, v14
	v_dual_add_f32 v10, v11, v19 :: v_dual_add_f32 v11, v13, v22
	v_fmamk_f32 v13, v46, 0xbf2c7751, v16
	v_fma_f32 v14, 0x3f3d2fb0, v45, -v14
	v_fmac_f32_e32 v16, 0x3f2c7751, v46
	v_dual_fmamk_f32 v18, v45, 0xbf1a4643, v17 :: v_dual_mul_f32 v19, 0xbf1a4643, v44
	v_mul_f32_e32 v21, 0x3f65296c, v43
	s_delay_alu instid0(VALU_DEP_4) | instskip(NEXT) | instid1(VALU_DEP_3)
	v_add_f32_e32 v14, v14, v15
	v_dual_add_f32 v15, v16, v23 :: v_dual_add_f32 v16, v18, v42
	s_delay_alu instid0(VALU_DEP_4)
	v_fmamk_f32 v18, v46, 0x3f4c4adb, v19
	v_fma_f32 v20, 0xbf1a4643, v45, -v17
	v_dual_fmamk_f32 v22, v45, 0x3ee437d1, v21 :: v_dual_mul_f32 v23, 0x3ee437d1, v44
	v_fmac_f32_e32 v19, 0xbf4c4adb, v46
	v_mul_f32_e32 v24, 0xbf763a35, v43
	v_add_f32_e32 v13, v13, v27
	v_add_f32_e32 v17, v18, v34
	;; [unrolled: 1-line block ×4, first 2 shown]
	v_fmamk_f32 v22, v46, 0xbf65296c, v23
	v_fma_f32 v25, 0x3ee437d1, v45, -v21
	v_mul_f32_e32 v27, 0xbe8c1d8e, v44
	v_dual_add_f32 v12, v12, v28 :: v_dual_add_f32 v19, v19, v29
	v_fmamk_f32 v26, v45, 0xbe8c1d8e, v24
	v_fma_f32 v28, 0xbe8c1d8e, v45, -v24
	v_mul_f32_e32 v29, 0x3f7ee86f, v43
	v_mul_f32_e32 v31, 0x3dbcf732, v44
	v_dual_add_f32 v21, v22, v30 :: v_dual_add_f32 v22, v25, v35
	v_add_nc_u32_e32 v35, 0x660, v124
	v_fmamk_f32 v25, v46, 0x3f763a35, v27
	v_add_f32_e32 v24, v26, v39
	v_add_f32_e32 v26, v28, v37
	v_fmamk_f32 v28, v45, 0x3dbcf732, v29
	v_fmamk_f32 v30, v46, 0xbf7ee86f, v31
	v_fma_f32 v34, 0x3dbcf732, v45, -v29
	v_fmac_f32_e32 v31, 0x3f7ee86f, v46
	v_fmac_f32_e32 v23, 0x3f65296c, v46
	;; [unrolled: 1-line block ×3, first 2 shown]
	v_dual_add_f32 v25, v25, v41 :: v_dual_add_f32 v28, v28, v40
	v_add_f32_e32 v29, v30, v47
	v_dual_add_f32 v30, v34, v48 :: v_dual_add_f32 v31, v31, v49
	v_add_f32_e32 v23, v23, v36
	v_add_f32_e32 v27, v27, v38
	ds_store_2addr_b64 v126, v[0:1], v[2:3] offset1:17
	ds_store_2addr_b64 v126, v[4:5], v[8:9] offset0:34 offset1:51
	ds_store_2addr_b64 v126, v[12:13], v[16:17] offset0:68 offset1:85
	ds_store_2addr_b64 v126, v[20:21], v[24:25] offset0:102 offset1:119
	ds_store_2addr_b64 v126, v[28:29], v[30:31] offset0:136 offset1:153
	ds_store_2addr_b64 v126, v[26:27], v[22:23] offset0:170 offset1:187
	ds_store_2addr_b64 v126, v[18:19], v[14:15] offset0:204 offset1:221
	ds_store_2addr_b64 v126, v[10:11], v[6:7] offset0:238 offset1:255
	ds_store_b64 v126, v[32:33] offset:2176
	v_add_nc_u32_e32 v16, 0xc00, v124
	global_wb scope:SCOPE_SE
	s_wait_dscnt 0x0
	s_barrier_signal -1
	s_barrier_wait -1
	global_inv scope:SCOPE_SE
	ds_load_2addr_b64 v[12:15], v124 offset1:34
	ds_load_2addr_b64 v[24:27], v117 offset0:33 offset1:67
	ds_load_2addr_b64 v[0:3], v124 offset0:68 offset1:102
	ds_load_2addr_b64 v[28:31], v117 offset0:101 offset1:135
	ds_load_2addr_b64 v[8:11], v124 offset0:136 offset1:170
	ds_load_2addr_b64 v[20:23], v117 offset0:169 offset1:203
	ds_load_2addr_b64 v[4:7], v124 offset0:204 offset1:238
	ds_load_2addr_b64 v[16:19], v16 offset0:109 offset1:143
	v_add_nc_u32_e32 v34, 0x770, v124
	s_and_saveexec_b32 s0, vcc_lo
	s_cbranch_execz .LBB0_7
; %bb.6:
	ds_load_b64 v[32:33], v124 offset:2176
	ds_load_b64 v[60:61], v124 offset:4488
.LBB0_7:
	s_wait_alu 0xfffe
	s_or_b32 exec_lo, exec_lo, s0
	s_wait_dscnt 0x6
	v_mul_f32_e32 v36, v114, v25
	v_mul_f32_e32 v38, v110, v27
	;; [unrolled: 1-line block ×4, first 2 shown]
	s_wait_dscnt 0x0
	v_mul_f32_e32 v40, v102, v17
	v_fmac_f32_e32 v36, v113, v24
	v_fmac_f32_e32 v38, v109, v26
	v_fma_f32 v24, v113, v25, -v37
	v_mul_f32_e32 v25, v116, v29
	v_mul_f32_e32 v37, v116, v28
	;; [unrolled: 1-line block ×3, first 2 shown]
	v_fma_f32 v27, v109, v27, -v39
	v_dual_mul_f32 v41, v108, v19 :: v_dual_fmac_f32 v40, v101, v16
	v_fmac_f32_e32 v25, v115, v28
	v_fma_f32 v28, v115, v29, -v37
	v_mul_f32_e32 v29, v104, v30
	v_dual_fmac_f32 v26, v103, v30 :: v_dual_mul_f32 v37, v106, v20
	v_dual_mul_f32 v30, v106, v21 :: v_dual_mul_f32 v39, v112, v23
	s_delay_alu instid0(VALU_DEP_3) | instskip(SKIP_1) | instid1(VALU_DEP_4)
	v_fma_f32 v29, v103, v31, -v29
	v_mul_f32_e32 v31, v112, v22
	v_fma_f32 v37, v105, v21, -v37
	s_delay_alu instid0(VALU_DEP_4) | instskip(SKIP_1) | instid1(VALU_DEP_4)
	v_dual_fmac_f32 v30, v105, v20 :: v_dual_fmac_f32 v39, v111, v22
	v_dual_mul_f32 v20, v102, v16 :: v_dual_mul_f32 v21, v108, v18
	v_fma_f32 v31, v111, v23, -v31
	v_dual_sub_f32 v16, v12, v36 :: v_dual_fmac_f32 v41, v107, v18
	s_delay_alu instid0(VALU_DEP_3)
	v_fma_f32 v36, v101, v17, -v20
	v_dual_sub_f32 v17, v13, v24 :: v_dual_sub_f32 v18, v14, v38
	v_dual_sub_f32 v22, v2, v26 :: v_dual_sub_f32 v23, v3, v29
	v_sub_f32_e32 v26, v10, v39
	v_fma_f32 v42, v107, v19, -v21
	v_dual_sub_f32 v19, v15, v27 :: v_dual_sub_f32 v20, v0, v25
	v_dual_sub_f32 v21, v1, v28 :: v_dual_sub_f32 v24, v8, v30
	v_fma_f32 v12, v12, 2.0, -v16
	v_fma_f32 v13, v13, 2.0, -v17
	v_dual_sub_f32 v25, v9, v37 :: v_dual_sub_f32 v28, v4, v40
	v_dual_sub_f32 v27, v11, v31 :: v_dual_sub_f32 v30, v6, v41
	v_sub_f32_e32 v29, v5, v36
	v_sub_f32_e32 v31, v7, v42
	v_fma_f32 v14, v14, 2.0, -v18
	v_fma_f32 v15, v15, 2.0, -v19
	;; [unrolled: 1-line block ×14, first 2 shown]
	ds_store_b64 v124, v[12:13]
	ds_store_b64 v125, v[16:17] offset:2312
	ds_store_b64 v124, v[14:15] offset:272
	ds_store_b64 v125, v[18:19] offset:2584
	ds_store_b64 v124, v[0:1] offset:544
	ds_store_b64 v125, v[20:21] offset:2856
	ds_store_b64 v124, v[2:3] offset:816
	ds_store_b64 v125, v[22:23] offset:3128
	ds_store_b64 v124, v[8:9] offset:1088
	ds_store_b64 v125, v[24:25] offset:3400
	ds_store_b64 v124, v[10:11] offset:1360
	ds_store_b64 v125, v[26:27] offset:3672
	ds_store_2addr_b64 v124, v[4:5], v[6:7] offset0:204 offset1:238
	ds_store_b64 v35, v[28:29] offset:2312
	ds_store_b64 v34, v[30:31] offset:2312
	s_and_saveexec_b32 s0, vcc_lo
	s_cbranch_execz .LBB0_9
; %bb.8:
	v_mul_f32_e32 v0, v100, v60
	s_delay_alu instid0(VALU_DEP_1) | instskip(NEXT) | instid1(VALU_DEP_1)
	v_fma_f32 v0, v99, v61, -v0
	v_dual_mul_f32 v2, v100, v61 :: v_dual_sub_f32 v1, v33, v0
	s_delay_alu instid0(VALU_DEP_1) | instskip(NEXT) | instid1(VALU_DEP_2)
	v_fmac_f32_e32 v2, v99, v60
	v_fma_f32 v3, v33, 2.0, -v1
	s_delay_alu instid0(VALU_DEP_2) | instskip(NEXT) | instid1(VALU_DEP_1)
	v_sub_f32_e32 v0, v32, v2
	v_fma_f32 v2, v32, 2.0, -v0
	ds_store_b64 v124, v[2:3] offset:2176
	ds_store_b64 v125, v[0:1] offset:4488
.LBB0_9:
	s_wait_alu 0xfffe
	s_or_b32 exec_lo, exec_lo, s0
	global_wb scope:SCOPE_SE
	s_wait_dscnt 0x0
	s_barrier_signal -1
	s_barrier_wait -1
	global_inv scope:SCOPE_SE
	ds_load_2addr_b64 v[0:3], v124 offset1:34
	ds_load_2addr_b64 v[4:7], v124 offset0:68 offset1:102
	ds_load_2addr_b64 v[8:11], v124 offset0:136 offset1:170
	;; [unrolled: 1-line block ×3, first 2 shown]
	v_mad_co_u64_u32 v[28:29], null, s6, v64, 0
	v_mad_co_u64_u32 v[30:31], null, s4, v123, 0
	v_add_nc_u32_e32 v24, 0x800, v124
	s_mov_b32 s8, 0xd10d4986
	s_mov_b32 s9, 0x3f5c5894
	s_mul_u64 s[0:1], s[4:5], 0x110
	s_delay_alu instid0(VALU_DEP_2)
	v_mad_co_u64_u32 v[40:41], null, s7, v64, v[29:30]
	s_wait_dscnt 0x2
	v_mul_f32_e32 v29, v66, v5
	v_dual_mul_f32 v16, v96, v1 :: v_dual_mul_f32 v19, v98, v2
	v_mul_f32_e32 v43, v68, v6
	v_dual_mul_f32 v17, v96, v0 :: v_dual_mul_f32 v18, v98, v3
	s_delay_alu instid0(VALU_DEP_3) | instskip(NEXT) | instid1(VALU_DEP_4)
	v_fmac_f32_e32 v16, v95, v0
	v_fma_f32 v19, v97, v3, -v19
	s_wait_dscnt 0x0
	v_dual_mul_f32 v44, v76, v9 :: v_dual_mul_f32 v51, v78, v12
	v_fma_f32 v17, v95, v1, -v17
	v_cvt_f64_f32_e32 v[32:33], v16
	v_fmac_f32_e32 v18, v97, v2
	v_cvt_f64_f32_e32 v[38:39], v19
	v_dual_mul_f32 v45, v76, v8 :: v_dual_mul_f32 v50, v78, v13
	v_cvt_f64_f32_e32 v[34:35], v17
	v_dual_mul_f32 v47, v80, v10 :: v_dual_fmac_f32 v44, v75, v8
	v_fma_f32 v43, v67, v7, -v43
	ds_load_2addr_b64 v[0:3], v24 offset0:16 offset1:50
	v_fma_f32 v45, v75, v9, -v45
	v_fma_f32 v48, v79, v11, -v47
	v_dual_mul_f32 v53, v84, v14 :: v_dual_fmac_f32 v50, v77, v12
	v_fmac_f32_e32 v29, v65, v4
	s_delay_alu instid0(VALU_DEP_3)
	v_cvt_f64_f32_e32 v[48:49], v48
	s_wait_dscnt 0x0
	v_mul_f32_e32 v55, v82, v3
	v_mad_co_u64_u32 v[41:42], null, s5, v123, v[31:32]
	v_mul_f32_e32 v31, v66, v4
	v_cvt_f64_f32_e32 v[36:37], v18
	v_mul_f32_e32 v42, v68, v7
	v_mul_f32_e32 v46, v80, v11
	s_wait_alu 0xfffe
	v_mul_f64_e32 v[32:33], s[8:9], v[32:33]
	v_fma_f32 v31, v65, v5, -v31
	v_mul_f64_e32 v[34:35], s[8:9], v[34:35]
	v_fmac_f32_e32 v42, v67, v6
	v_cvt_f64_f32_e32 v[4:5], v29
	v_mov_b32_e32 v29, v40
	v_cvt_f64_f32_e32 v[6:7], v31
	v_mul_f64_e32 v[38:39], s[8:9], v[38:39]
	v_cvt_f64_f32_e32 v[8:9], v42
	v_dual_mov_b32 v31, v41 :: v_dual_fmac_f32 v46, v79, v10
	v_cvt_f64_f32_e32 v[10:11], v43
	v_cvt_f64_f32_e32 v[42:43], v44
	;; [unrolled: 1-line block ×3, first 2 shown]
	v_fma_f32 v40, v77, v13, -v51
	v_fma_f32 v51, v83, v15, -v53
	v_mul_f32_e32 v53, v86, v1
	v_cvt_f64_f32_e32 v[46:47], v46
	ds_load_2addr_b64 v[16:19], v24 offset0:84 offset1:118
	ds_load_2addr_b64 v[20:23], v24 offset0:152 offset1:186
	;; [unrolled: 1-line block ×3, first 2 shown]
	v_mul_f32_e32 v52, v84, v15
	v_mul_f32_e32 v54, v86, v0
	v_fmac_f32_e32 v53, v85, v0
	v_lshlrev_b64_e32 v[12:13], 3, v[28:29]
	v_cvt_f64_f32_e32 v[28:29], v50
	v_fmac_f32_e32 v52, v83, v14
	v_lshlrev_b64_e32 v[14:15], 3, v[30:31]
	v_cvt_f64_f32_e32 v[30:31], v40
	v_cvt_f64_f32_e32 v[50:51], v51
	v_fmac_f32_e32 v55, v81, v2
	v_cvt_f64_f32_e32 v[40:41], v52
	v_mul_f64_e32 v[36:37], s[8:9], v[36:37]
	s_wait_dscnt 0x2
	v_mul_f32_e32 v57, v88, v17
	v_fma_f32 v52, v85, v1, -v54
	v_cvt_f32_f64_e32 v32, v[32:33]
	v_mul_f32_e32 v56, v82, v2
	v_cvt_f32_f64_e32 v33, v[34:35]
	v_fmac_f32_e32 v57, v87, v16
	v_mul_f64_e32 v[0:1], s[8:9], v[4:5]
	v_dual_mul_f32 v58, v88, v16 :: v_dual_mul_f32 v59, v90, v19
	v_mul_f64_e32 v[4:5], s[8:9], v[6:7]
	v_mul_f64_e32 v[6:7], s[8:9], v[8:9]
	v_cvt_f32_f64_e32 v35, v[38:39]
	v_add_co_u32 v39, vcc_lo, s2, v12
	v_mul_f64_e32 v[8:9], s[8:9], v[10:11]
	v_mul_f64_e32 v[10:11], s[8:9], v[42:43]
	;; [unrolled: 1-line block ×3, first 2 shown]
	v_mul_f32_e32 v60, v90, v18
	v_fmac_f32_e32 v59, v89, v18
	v_mul_f64_e32 v[44:45], s[8:9], v[46:47]
	v_mul_f64_e32 v[46:47], s[8:9], v[48:49]
	s_wait_alu 0xfffd
	v_add_co_ci_u32_e32 v48, vcc_lo, s3, v13, vcc_lo
	v_add_co_u32 v14, vcc_lo, v39, v14
	v_cvt_f64_f32_e32 v[12:13], v52
	s_wait_alu 0xfffd
	s_delay_alu instid0(VALU_DEP_3) | instskip(NEXT) | instid1(VALU_DEP_3)
	v_add_co_ci_u32_e32 v15, vcc_lo, v48, v15, vcc_lo
	v_add_co_u32 v48, vcc_lo, v14, s0
	v_fma_f32 v38, v87, v17, -v58
	s_wait_alu 0xfffd
	s_delay_alu instid0(VALU_DEP_3) | instskip(NEXT) | instid1(VALU_DEP_3)
	v_add_co_ci_u32_e32 v49, vcc_lo, s1, v15, vcc_lo
	v_add_co_u32 v54, vcc_lo, v48, s0
	s_delay_alu instid0(VALU_DEP_3)
	v_cvt_f64_f32_e32 v[38:39], v38
	v_mul_f64_e32 v[28:29], s[8:9], v[28:29]
	v_cvt_f32_f64_e32 v34, v[36:37]
	v_fma_f32 v36, v81, v3, -v56
	v_cvt_f64_f32_e32 v[2:3], v53
	v_fma_f32 v56, v89, v19, -v60
	v_mul_f64_e32 v[30:31], s[8:9], v[30:31]
	v_mul_f64_e32 v[40:41], s[8:9], v[40:41]
	v_cvt_f64_f32_e32 v[18:19], v36
	v_cvt_f32_f64_e32 v0, v[0:1]
	v_cvt_f64_f32_e32 v[36:37], v57
	v_mul_f64_e32 v[50:51], s[8:9], v[50:51]
	v_cvt_f32_f64_e32 v1, v[4:5]
	v_cvt_f32_f64_e32 v4, v[6:7]
	s_clause 0x1
	global_store_b64 v[14:15], v[32:33], off
	global_store_b64 v[48:49], v[34:35], off
	s_wait_dscnt 0x1
	v_mul_f32_e32 v34, v74, v23
	v_cvt_f32_f64_e32 v6, v[10:11]
	ds_load_b64 v[10:11], v124 offset:4352
	v_cvt_f32_f64_e32 v7, v[42:43]
	s_wait_dscnt 0x1
	v_dual_mul_f32 v33, v70, v20 :: v_dual_mul_f32 v42, v72, v25
	v_mul_f32_e32 v32, v70, v21
	v_mul_f32_e32 v35, v74, v22
	v_cvt_f64_f32_e32 v[16:17], v55
	v_cvt_f32_f64_e32 v5, v[8:9]
	v_fmac_f32_e32 v42, v71, v24
	v_mul_f32_e32 v24, v72, v24
	v_cvt_f32_f64_e32 v8, v[44:45]
	v_mul_f32_e32 v44, v92, v27
	v_mul_f32_e32 v45, v92, v26
	v_cvt_f32_f64_e32 v9, v[46:47]
	v_fmac_f32_e32 v32, v69, v20
	v_fma_f32 v33, v69, v21, -v33
	v_fmac_f32_e32 v34, v73, v22
	v_fma_f32 v35, v73, v23, -v35
	v_cvt_f64_f32_e32 v[52:53], v59
	v_cvt_f64_f32_e32 v[14:15], v56
	s_wait_dscnt 0x0
	v_mul_f32_e32 v47, v94, v10
	v_mul_f32_e32 v46, v94, v11
	v_fma_f32 v24, v71, v25, -v24
	v_fmac_f32_e32 v44, v91, v26
	v_fma_f32 v26, v91, v27, -v45
	v_fma_f32 v47, v93, v11, -v47
	v_fmac_f32_e32 v46, v93, v10
	v_cvt_f64_f32_e32 v[20:21], v32
	v_cvt_f64_f32_e32 v[22:23], v33
	;; [unrolled: 1-line block ×10, first 2 shown]
	s_wait_alu 0xfffd
	v_add_co_ci_u32_e32 v55, vcc_lo, s1, v49, vcc_lo
	v_mul_f64_e32 v[2:3], s[8:9], v[2:3]
	v_mul_f64_e32 v[12:13], s[8:9], v[12:13]
	v_add_co_u32 v48, vcc_lo, v54, s0
	s_wait_alu 0xfffd
	v_add_co_ci_u32_e32 v49, vcc_lo, s1, v55, vcc_lo
	v_mul_f64_e32 v[16:17], s[8:9], v[16:17]
	s_delay_alu instid0(VALU_DEP_3) | instskip(SKIP_1) | instid1(VALU_DEP_3)
	v_add_co_u32 v56, vcc_lo, v48, s0
	s_wait_alu 0xfffd
	v_add_co_ci_u32_e32 v57, vcc_lo, s1, v49, vcc_lo
	v_mul_f64_e32 v[18:19], s[8:9], v[18:19]
	s_delay_alu instid0(VALU_DEP_3) | instskip(SKIP_1) | instid1(VALU_DEP_3)
	v_add_co_u32 v58, vcc_lo, v56, s0
	s_wait_alu 0xfffd
	v_add_co_ci_u32_e32 v59, vcc_lo, s1, v57, vcc_lo
	v_mul_f64_e32 v[36:37], s[8:9], v[36:37]
	v_mul_f64_e32 v[38:39], s[8:9], v[38:39]
	s_clause 0x2
	global_store_b64 v[54:55], v[0:1], off
	global_store_b64 v[48:49], v[4:5], off
	;; [unrolled: 1-line block ×4, first 2 shown]
	v_mul_f64_e32 v[0:1], s[8:9], v[52:53]
	v_mul_f64_e32 v[4:5], s[8:9], v[14:15]
	v_cvt_f32_f64_e32 v28, v[28:29]
	v_cvt_f32_f64_e32 v29, v[30:31]
	;; [unrolled: 1-line block ×4, first 2 shown]
	v_add_co_u32 v30, vcc_lo, v58, s0
	v_mul_f64_e32 v[6:7], s[8:9], v[20:21]
	v_mul_f64_e32 v[8:9], s[8:9], v[22:23]
	v_mul_f64_e32 v[14:15], s[8:9], v[32:33]
	v_mul_f64_e32 v[20:21], s[8:9], v[34:35]
	v_mul_f64_e32 v[22:23], s[8:9], v[42:43]
	v_mul_f64_e32 v[10:11], s[8:9], v[10:11]
	v_mul_f64_e32 v[24:25], s[8:9], v[24:25]
	v_mul_f64_e32 v[26:27], s[8:9], v[26:27]
	v_mul_f64_e32 v[32:33], s[8:9], v[44:45]
	v_mul_f64_e32 v[34:35], s[8:9], v[46:47]
	s_wait_alu 0xfffd
	v_add_co_ci_u32_e32 v31, vcc_lo, s1, v59, vcc_lo
	v_cvt_f32_f64_e32 v2, v[2:3]
	v_cvt_f32_f64_e32 v3, v[12:13]
	v_add_co_u32 v42, vcc_lo, v30, s0
	s_wait_alu 0xfffd
	v_add_co_ci_u32_e32 v43, vcc_lo, s1, v31, vcc_lo
	v_cvt_f32_f64_e32 v16, v[16:17]
	s_delay_alu instid0(VALU_DEP_3) | instskip(SKIP_1) | instid1(VALU_DEP_3)
	v_add_co_u32 v12, vcc_lo, v42, s0
	s_wait_alu 0xfffd
	v_add_co_ci_u32_e32 v13, vcc_lo, s1, v43, vcc_lo
	v_cvt_f32_f64_e32 v17, v[18:19]
	v_cvt_f32_f64_e32 v18, v[36:37]
	v_cvt_f32_f64_e32 v19, v[38:39]
	v_add_co_u32 v36, vcc_lo, v12, s0
	v_cvt_f32_f64_e32 v0, v[0:1]
	v_cvt_f32_f64_e32 v1, v[4:5]
	s_wait_alu 0xfffd
	v_add_co_ci_u32_e32 v37, vcc_lo, s1, v13, vcc_lo
	global_store_b64 v[30:31], v[28:29], off
	global_store_b64 v[42:43], v[40:41], off
	v_cvt_f32_f64_e32 v4, v[6:7]
	v_cvt_f32_f64_e32 v5, v[8:9]
	;; [unrolled: 1-line block ×10, first 2 shown]
	v_add_co_u32 v20, vcc_lo, v36, s0
	s_wait_alu 0xfffd
	v_add_co_ci_u32_e32 v21, vcc_lo, s1, v37, vcc_lo
	global_store_b64 v[12:13], v[2:3], off
	v_add_co_u32 v22, vcc_lo, v20, s0
	s_wait_alu 0xfffd
	v_add_co_ci_u32_e32 v23, vcc_lo, s1, v21, vcc_lo
	s_delay_alu instid0(VALU_DEP_2) | instskip(SKIP_1) | instid1(VALU_DEP_2)
	v_add_co_u32 v24, vcc_lo, v22, s0
	s_wait_alu 0xfffd
	v_add_co_ci_u32_e32 v25, vcc_lo, s1, v23, vcc_lo
	global_store_b64 v[36:37], v[16:17], off
	v_add_co_u32 v2, vcc_lo, v24, s0
	s_wait_alu 0xfffd
	v_add_co_ci_u32_e32 v3, vcc_lo, s1, v25, vcc_lo
	global_store_b64 v[20:21], v[18:19], off
	;; [unrolled: 4-line block ×3, first 2 shown]
	v_add_co_u32 v16, vcc_lo, v12, s0
	s_wait_alu 0xfffd
	v_add_co_ci_u32_e32 v17, vcc_lo, s1, v13, vcc_lo
	s_delay_alu instid0(VALU_DEP_2) | instskip(SKIP_1) | instid1(VALU_DEP_2)
	v_add_co_u32 v0, vcc_lo, v16, s0
	s_wait_alu 0xfffd
	v_add_co_ci_u32_e32 v1, vcc_lo, s1, v17, vcc_lo
	global_store_b64 v[24:25], v[4:5], off
	global_store_b64 v[2:3], v[6:7], off
	;; [unrolled: 1-line block ×5, first 2 shown]
.LBB0_10:
	s_nop 0
	s_sendmsg sendmsg(MSG_DEALLOC_VGPRS)
	s_endpgm
	.section	.rodata,"a",@progbits
	.p2align	6, 0x0
	.amdhsa_kernel bluestein_single_back_len578_dim1_sp_op_CI_CI
		.amdhsa_group_segment_fixed_size 32368
		.amdhsa_private_segment_fixed_size 0
		.amdhsa_kernarg_size 104
		.amdhsa_user_sgpr_count 2
		.amdhsa_user_sgpr_dispatch_ptr 0
		.amdhsa_user_sgpr_queue_ptr 0
		.amdhsa_user_sgpr_kernarg_segment_ptr 1
		.amdhsa_user_sgpr_dispatch_id 0
		.amdhsa_user_sgpr_private_segment_size 0
		.amdhsa_wavefront_size32 1
		.amdhsa_uses_dynamic_stack 0
		.amdhsa_enable_private_segment 0
		.amdhsa_system_sgpr_workgroup_id_x 1
		.amdhsa_system_sgpr_workgroup_id_y 0
		.amdhsa_system_sgpr_workgroup_id_z 0
		.amdhsa_system_sgpr_workgroup_info 0
		.amdhsa_system_vgpr_workitem_id 0
		.amdhsa_next_free_vgpr 232
		.amdhsa_next_free_sgpr 20
		.amdhsa_reserve_vcc 1
		.amdhsa_float_round_mode_32 0
		.amdhsa_float_round_mode_16_64 0
		.amdhsa_float_denorm_mode_32 3
		.amdhsa_float_denorm_mode_16_64 3
		.amdhsa_fp16_overflow 0
		.amdhsa_workgroup_processor_mode 1
		.amdhsa_memory_ordered 1
		.amdhsa_forward_progress 0
		.amdhsa_round_robin_scheduling 0
		.amdhsa_exception_fp_ieee_invalid_op 0
		.amdhsa_exception_fp_denorm_src 0
		.amdhsa_exception_fp_ieee_div_zero 0
		.amdhsa_exception_fp_ieee_overflow 0
		.amdhsa_exception_fp_ieee_underflow 0
		.amdhsa_exception_fp_ieee_inexact 0
		.amdhsa_exception_int_div_zero 0
	.end_amdhsa_kernel
	.text
.Lfunc_end0:
	.size	bluestein_single_back_len578_dim1_sp_op_CI_CI, .Lfunc_end0-bluestein_single_back_len578_dim1_sp_op_CI_CI
                                        ; -- End function
	.section	.AMDGPU.csdata,"",@progbits
; Kernel info:
; codeLenInByte = 27268
; NumSgprs: 22
; NumVgprs: 232
; ScratchSize: 0
; MemoryBound: 0
; FloatMode: 240
; IeeeMode: 1
; LDSByteSize: 32368 bytes/workgroup (compile time only)
; SGPRBlocks: 2
; VGPRBlocks: 28
; NumSGPRsForWavesPerEU: 22
; NumVGPRsForWavesPerEU: 232
; Occupancy: 6
; WaveLimiterHint : 1
; COMPUTE_PGM_RSRC2:SCRATCH_EN: 0
; COMPUTE_PGM_RSRC2:USER_SGPR: 2
; COMPUTE_PGM_RSRC2:TRAP_HANDLER: 0
; COMPUTE_PGM_RSRC2:TGID_X_EN: 1
; COMPUTE_PGM_RSRC2:TGID_Y_EN: 0
; COMPUTE_PGM_RSRC2:TGID_Z_EN: 0
; COMPUTE_PGM_RSRC2:TIDIG_COMP_CNT: 0
	.text
	.p2alignl 7, 3214868480
	.fill 96, 4, 3214868480
	.type	__hip_cuid_201ef732f21b519e,@object ; @__hip_cuid_201ef732f21b519e
	.section	.bss,"aw",@nobits
	.globl	__hip_cuid_201ef732f21b519e
__hip_cuid_201ef732f21b519e:
	.byte	0                               ; 0x0
	.size	__hip_cuid_201ef732f21b519e, 1

	.ident	"AMD clang version 19.0.0git (https://github.com/RadeonOpenCompute/llvm-project roc-6.4.0 25133 c7fe45cf4b819c5991fe208aaa96edf142730f1d)"
	.section	".note.GNU-stack","",@progbits
	.addrsig
	.addrsig_sym __hip_cuid_201ef732f21b519e
	.amdgpu_metadata
---
amdhsa.kernels:
  - .args:
      - .actual_access:  read_only
        .address_space:  global
        .offset:         0
        .size:           8
        .value_kind:     global_buffer
      - .actual_access:  read_only
        .address_space:  global
        .offset:         8
        .size:           8
        .value_kind:     global_buffer
      - .actual_access:  read_only
        .address_space:  global
        .offset:         16
        .size:           8
        .value_kind:     global_buffer
      - .actual_access:  read_only
        .address_space:  global
        .offset:         24
        .size:           8
        .value_kind:     global_buffer
      - .actual_access:  read_only
        .address_space:  global
        .offset:         32
        .size:           8
        .value_kind:     global_buffer
      - .offset:         40
        .size:           8
        .value_kind:     by_value
      - .address_space:  global
        .offset:         48
        .size:           8
        .value_kind:     global_buffer
      - .address_space:  global
        .offset:         56
        .size:           8
        .value_kind:     global_buffer
      - .address_space:  global
        .offset:         64
        .size:           8
        .value_kind:     global_buffer
      - .address_space:  global
        .offset:         72
        .size:           8
        .value_kind:     global_buffer
      - .offset:         80
        .size:           4
        .value_kind:     by_value
      - .address_space:  global
        .offset:         88
        .size:           8
        .value_kind:     global_buffer
      - .address_space:  global
        .offset:         96
        .size:           8
        .value_kind:     global_buffer
    .group_segment_fixed_size: 32368
    .kernarg_segment_align: 8
    .kernarg_segment_size: 104
    .language:       OpenCL C
    .language_version:
      - 2
      - 0
    .max_flat_workgroup_size: 238
    .name:           bluestein_single_back_len578_dim1_sp_op_CI_CI
    .private_segment_fixed_size: 0
    .sgpr_count:     22
    .sgpr_spill_count: 0
    .symbol:         bluestein_single_back_len578_dim1_sp_op_CI_CI.kd
    .uniform_work_group_size: 1
    .uses_dynamic_stack: false
    .vgpr_count:     232
    .vgpr_spill_count: 0
    .wavefront_size: 32
    .workgroup_processor_mode: 1
amdhsa.target:   amdgcn-amd-amdhsa--gfx1201
amdhsa.version:
  - 1
  - 2
...

	.end_amdgpu_metadata
